;; amdgpu-corpus repo=ROCm/rocFFT kind=compiled arch=gfx906 opt=O3
	.text
	.amdgcn_target "amdgcn-amd-amdhsa--gfx906"
	.amdhsa_code_object_version 6
	.protected	bluestein_single_back_len1408_dim1_half_op_CI_CI ; -- Begin function bluestein_single_back_len1408_dim1_half_op_CI_CI
	.globl	bluestein_single_back_len1408_dim1_half_op_CI_CI
	.p2align	8
	.type	bluestein_single_back_len1408_dim1_half_op_CI_CI,@function
bluestein_single_back_len1408_dim1_half_op_CI_CI: ; @bluestein_single_back_len1408_dim1_half_op_CI_CI
; %bb.0:
	s_load_dwordx4 s[16:19], s[4:5], 0x28
	v_mul_u32_u24_e32 v1, 0x175, v0
	v_add_u32_sdwa v8, s6, v1 dst_sel:DWORD dst_unused:UNUSED_PAD src0_sel:DWORD src1_sel:WORD_1
	v_mov_b32_e32 v9, 0
	s_waitcnt lgkmcnt(0)
	v_cmp_gt_u64_e32 vcc, s[16:17], v[8:9]
	s_and_saveexec_b64 s[0:1], vcc
	s_cbranch_execz .LBB0_10
; %bb.1:
	s_load_dwordx4 s[0:3], s[4:5], 0x18
	s_load_dwordx4 s[12:15], s[4:5], 0x0
                                        ; implicit-def: $vgpr84
                                        ; implicit-def: $vgpr86
                                        ; implicit-def: $vgpr85
                                        ; implicit-def: $vgpr87
	s_nop 0
	s_load_dwordx2 s[4:5], s[4:5], 0x38
	s_waitcnt lgkmcnt(0)
	s_load_dwordx4 s[8:11], s[0:1], 0x0
	s_movk_i32 s0, 0xb0
	v_mul_lo_u16_sdwa v1, v1, s0 dst_sel:DWORD dst_unused:UNUSED_PAD src0_sel:WORD_1 src1_sel:DWORD
	v_sub_u16_e32 v28, v0, v1
	v_lshlrev_b32_e32 v30, 2, v28
	s_waitcnt lgkmcnt(0)
	v_mad_u64_u32 v[0:1], s[0:1], s10, v8, 0
	v_mad_u64_u32 v[2:3], s[0:1], s8, v28, 0
	s_mul_i32 s7, s8, 0xb00
	global_load_dword v29, v30, s[12:13]
	global_load_dword v27, v30, s[12:13] offset:2816
	v_mad_u64_u32 v[4:5], s[0:1], s11, v8, v[1:2]
	v_lshlrev_b32_e32 v33, 3, v28
	v_and_b32_e32 v13, 1, v28
	v_mad_u64_u32 v[5:6], s[0:1], s9, v28, v[3:4]
	v_mov_b32_e32 v1, v4
	v_lshlrev_b64 v[0:1], 2, v[0:1]
	v_mov_b32_e32 v6, s19
	v_mov_b32_e32 v3, v5
	v_add_co_u32_e32 v4, vcc, s18, v0
	v_addc_co_u32_e32 v5, vcc, v6, v1, vcc
	v_lshlrev_b64 v[0:1], 2, v[2:3]
	v_mov_b32_e32 v2, s13
	v_add_co_u32_e32 v0, vcc, v4, v0
	v_addc_co_u32_e32 v1, vcc, v5, v1, vcc
	v_add_co_u32_e32 v31, vcc, s12, v30
	v_addc_co_u32_e64 v4, s[0:1], 0, v2, vcc
	s_mul_i32 s0, s9, 0xb00
	s_mul_hi_u32 s1, s8, 0xb00
	s_add_i32 s6, s1, s0
	v_mov_b32_e32 v3, s6
	v_add_co_u32_e64 v2, s[0:1], s7, v0
	v_addc_co_u32_e64 v3, s[0:1], v1, v3, s[0:1]
	global_load_dword v6, v[0:1], off
	global_load_dword v7, v[2:3], off
	s_mul_hi_u32 s1, s8, 0xfffff7c0
	s_mul_i32 s0, s9, 0xfffff7c0
	s_sub_i32 s1, s1, s8
	s_add_i32 s9, s1, s0
	s_mulk_i32 s8, 0xf7c0
	v_mov_b32_e32 v5, s9
	v_add_co_u32_e64 v0, s[0:1], s8, v2
	v_addc_co_u32_e64 v1, s[0:1], v3, v5, s[0:1]
	global_load_dword v5, v[0:1], off
	global_load_dword v26, v30, s[12:13] offset:704
	v_mov_b32_e32 v2, s6
	v_add_co_u32_e64 v0, s[0:1], s7, v0
	v_addc_co_u32_e64 v1, s[0:1], v1, v2, s[0:1]
	v_mov_b32_e32 v3, s9
	v_add_co_u32_e64 v2, s[0:1], s8, v0
	global_load_dword v25, v30, s[12:13] offset:3520
	v_addc_co_u32_e64 v3, s[0:1], v1, v3, s[0:1]
	global_load_dword v9, v[0:1], off
	global_load_dword v10, v[2:3], off
	global_load_dword v24, v30, s[12:13] offset:1408
	v_mov_b32_e32 v1, s6
	v_add_co_u32_e64 v0, s[0:1], s7, v2
	v_addc_co_u32_e64 v1, s[0:1], v3, v1, s[0:1]
	s_movk_i32 s0, 0x1000
	v_add_co_u32_e64 v2, s[0:1], s0, v31
	global_load_dword v11, v[0:1], off
	v_addc_co_u32_e64 v3, s[0:1], 0, v4, s[0:1]
	global_load_dword v23, v[2:3], off offset:128
	v_mov_b32_e32 v4, s9
	v_add_co_u32_e64 v0, s[0:1], s8, v0
	v_addc_co_u32_e64 v1, s[0:1], v1, v4, s[0:1]
	global_load_dword v4, v[0:1], off
	global_load_dword v22, v30, s[12:13] offset:2112
	v_mov_b32_e32 v12, s6
	v_add_co_u32_e64 v0, s[0:1], s7, v0
	v_addc_co_u32_e64 v1, s[0:1], v1, v12, s[0:1]
	global_load_dword v12, v[0:1], off
	global_load_dword v21, v[2:3], off offset:832
	s_load_dwordx4 s[8:11], s[2:3], 0x0
	s_movk_i32 s0, 0x1fc
	v_add_u32_e32 v60, 0xb0, v28
	v_add_u32_e32 v64, 0x210, v28
	s_movk_i32 s1, 0x3e0
	s_waitcnt vmcnt(13)
	v_lshrrev_b32_e32 v0, 16, v6
	v_mul_f16_sdwa v1, v29, v6 dst_sel:DWORD dst_unused:UNUSED_PAD src0_sel:WORD_1 src1_sel:DWORD
	v_mul_f16_sdwa v2, v29, v0 dst_sel:DWORD dst_unused:UNUSED_PAD src0_sel:WORD_1 src1_sel:DWORD
	v_fma_f16 v0, v29, v0, -v1
	s_waitcnt vmcnt(12)
	v_lshrrev_b32_e32 v1, 16, v7
	v_fma_f16 v2, v29, v6, v2
	v_pack_b32_f16 v0, v2, v0
	v_mul_f16_sdwa v2, v27, v1 dst_sel:DWORD dst_unused:UNUSED_PAD src0_sel:WORD_1 src1_sel:DWORD
	v_mul_f16_sdwa v3, v27, v7 dst_sel:DWORD dst_unused:UNUSED_PAD src0_sel:WORD_1 src1_sel:DWORD
	v_fma_f16 v2, v27, v7, v2
	v_fma_f16 v1, v27, v1, -v3
	v_pack_b32_f16 v1, v2, v1
	ds_write_b32 v30, v1 offset:2816
	s_waitcnt vmcnt(11)
	v_lshrrev_b32_e32 v1, 16, v5
	s_waitcnt vmcnt(10)
	v_mul_f16_sdwa v2, v26, v1 dst_sel:DWORD dst_unused:UNUSED_PAD src0_sel:WORD_1 src1_sel:DWORD
	v_mul_f16_sdwa v3, v26, v5 dst_sel:DWORD dst_unused:UNUSED_PAD src0_sel:WORD_1 src1_sel:DWORD
	v_fma_f16 v2, v26, v5, v2
	v_fma_f16 v1, v26, v1, -v3
	v_pack_b32_f16 v1, v2, v1
	ds_write2_b32 v30, v0, v1 offset1:176
	s_waitcnt vmcnt(8)
	v_lshrrev_b32_e32 v0, 16, v9
	v_mul_f16_sdwa v1, v25, v0 dst_sel:DWORD dst_unused:UNUSED_PAD src0_sel:WORD_1 src1_sel:DWORD
	v_mul_f16_sdwa v2, v25, v9 dst_sel:DWORD dst_unused:UNUSED_PAD src0_sel:WORD_1 src1_sel:DWORD
	v_fma_f16 v1, v25, v9, v1
	v_fma_f16 v0, v25, v0, -v2
	v_pack_b32_f16 v0, v1, v0
	s_waitcnt vmcnt(7)
	v_lshrrev_b32_e32 v1, 16, v10
	s_waitcnt vmcnt(6)
	v_mul_f16_sdwa v2, v24, v1 dst_sel:DWORD dst_unused:UNUSED_PAD src0_sel:WORD_1 src1_sel:DWORD
	v_mul_f16_sdwa v3, v24, v10 dst_sel:DWORD dst_unused:UNUSED_PAD src0_sel:WORD_1 src1_sel:DWORD
	v_fma_f16 v2, v24, v10, v2
	v_fma_f16 v1, v24, v1, -v3
	v_pack_b32_f16 v1, v2, v1
	s_waitcnt vmcnt(5)
	v_lshrrev_b32_e32 v2, 16, v11
	s_waitcnt vmcnt(4)
	v_mul_f16_sdwa v3, v23, v2 dst_sel:DWORD dst_unused:UNUSED_PAD src0_sel:WORD_1 src1_sel:DWORD
	v_mul_f16_sdwa v5, v23, v11 dst_sel:DWORD dst_unused:UNUSED_PAD src0_sel:WORD_1 src1_sel:DWORD
	v_fma_f16 v3, v23, v11, v3
	v_fma_f16 v2, v23, v2, -v5
	v_pack_b32_f16 v2, v3, v2
	v_add_u32_e32 v3, 0xd00, v30
	ds_write2_b32 v3, v0, v2 offset0:48 offset1:224
	s_waitcnt vmcnt(3)
	v_lshrrev_b32_e32 v0, 16, v4
	s_waitcnt vmcnt(2)
	v_mul_f16_sdwa v2, v22, v0 dst_sel:DWORD dst_unused:UNUSED_PAD src0_sel:WORD_1 src1_sel:DWORD
	v_mul_f16_sdwa v3, v22, v4 dst_sel:DWORD dst_unused:UNUSED_PAD src0_sel:WORD_1 src1_sel:DWORD
	v_fma_f16 v2, v22, v4, v2
	v_fma_f16 v0, v22, v0, -v3
	v_pack_b32_f16 v2, v2, v0
	v_add_u32_e32 v0, 0x500, v30
	ds_write2_b32 v0, v1, v2 offset0:32 offset1:208
	s_waitcnt vmcnt(1)
	v_lshrrev_b32_e32 v1, 16, v12
	s_waitcnt vmcnt(0)
	v_mul_f16_sdwa v2, v21, v1 dst_sel:DWORD dst_unused:UNUSED_PAD src0_sel:WORD_1 src1_sel:DWORD
	v_mul_f16_sdwa v3, v21, v12 dst_sel:DWORD dst_unused:UNUSED_PAD src0_sel:WORD_1 src1_sel:DWORD
	v_fma_f16 v2, v21, v12, v2
	v_fma_f16 v1, v21, v1, -v3
	v_pack_b32_f16 v1, v2, v1
	ds_write_b32 v30, v1 offset:4928
	v_add_u32_e32 v1, 0xa00, v30
	s_waitcnt lgkmcnt(0)
	s_barrier
	ds_read2_b32 v[2:3], v30 offset1:176
	ds_read2_b32 v[4:5], v1 offset0:64 offset1:240
	ds_read2_b32 v[9:10], v0 offset0:32 offset1:208
	s_waitcnt lgkmcnt(1)
	v_pk_add_f16 v7, v2, v4 neg_lo:[0,1] neg_hi:[0,1]
	v_pk_fma_f16 v6, v2, 2.0, v7 op_sel_hi:[1,0,1] neg_lo:[0,0,1] neg_hi:[0,0,1]
	v_add_u32_e32 v2, 0x1000, v30
	ds_read2_b32 v[11:12], v2 offset0:32 offset1:208
	v_pk_add_f16 v4, v3, v5 neg_lo:[0,1] neg_hi:[0,1]
	v_pk_fma_f16 v3, v3, 2.0, v4 op_sel_hi:[1,0,1] neg_lo:[0,0,1] neg_hi:[0,0,1]
	s_waitcnt lgkmcnt(0)
	s_barrier
	ds_write2_b64 v33, v[6:7], v[3:4] offset1:176
	v_lshlrev_b32_e32 v3, 1, v28
	v_pk_add_f16 v5, v9, v11 neg_lo:[0,1] neg_hi:[0,1]
	v_pk_fma_f16 v4, v9, 2.0, v5 op_sel_hi:[1,0,1] neg_lo:[0,0,1] neg_hi:[0,0,1]
	v_pk_add_f16 v7, v10, v12 neg_lo:[0,1] neg_hi:[0,1]
	v_lshlrev_b32_e32 v9, 2, v3
	v_pk_fma_f16 v6, v10, 2.0, v7 op_sel_hi:[1,0,1] neg_lo:[0,0,1] neg_hi:[0,0,1]
	ds_write_b64 v9, v[4:5] offset:2816
	ds_write_b64 v33, v[6:7] offset:4224
	v_lshlrev_b32_e32 v4, 2, v13
	s_waitcnt lgkmcnt(0)
	s_barrier
	global_load_dword v32, v4, s[14:15]
	ds_read2_b32 v[4:5], v1 offset0:64 offset1:240
	ds_read2_b32 v[6:7], v30 offset1:176
	ds_read2_b32 v[9:10], v0 offset0:32 offset1:208
	ds_read2_b32 v[11:12], v2 offset0:32 offset1:208
	s_waitcnt lgkmcnt(0)
	v_lshrrev_b32_e32 v14, 16, v4
	v_lshrrev_b32_e32 v15, 16, v6
	s_waitcnt vmcnt(0)
	s_barrier
	v_add_u32_e32 v63, 0x2c0, v3
	v_mul_f16_sdwa v16, v4, v32 dst_sel:DWORD dst_unused:UNUSED_PAD src0_sel:DWORD src1_sel:WORD_1
	v_mul_f16_sdwa v17, v14, v32 dst_sel:DWORD dst_unused:UNUSED_PAD src0_sel:DWORD src1_sel:WORD_1
	v_fma_f16 v14, v14, v32, v16
	v_fma_f16 v4, v4, v32, -v17
	v_sub_f16_e32 v4, v6, v4
	v_sub_f16_e32 v14, v15, v14
	v_fma_f16 v15, v15, 2.0, -v14
	v_pack_b32_f16 v14, v4, v14
	v_fma_f16 v4, v6, 2.0, -v4
	v_and_or_b32 v6, v3, s0, v13
	v_pack_b32_f16 v4, v4, v15
	v_lshlrev_b32_e32 v34, 2, v6
	ds_write2_b32 v34, v4, v14 offset1:2
	v_lshrrev_b32_e32 v4, 16, v5
	v_mul_f16_sdwa v6, v4, v32 dst_sel:DWORD dst_unused:UNUSED_PAD src0_sel:DWORD src1_sel:WORD_1
	v_fma_f16 v6, v5, v32, -v6
	v_mul_f16_sdwa v5, v5, v32 dst_sel:DWORD dst_unused:UNUSED_PAD src0_sel:DWORD src1_sel:WORD_1
	v_fma_f16 v4, v4, v32, v5
	v_sub_f16_e32 v5, v7, v6
	v_lshrrev_b32_e32 v6, 16, v7
	v_sub_f16_e32 v4, v6, v4
	v_fma_f16 v7, v7, 2.0, -v5
	v_fma_f16 v6, v6, 2.0, -v4
	v_pack_b32_f16 v4, v5, v4
	s_movk_i32 s0, 0x3fc
	v_lshlrev_b32_e32 v5, 1, v60
	v_pack_b32_f16 v6, v7, v6
	v_and_or_b32 v7, v5, s0, v13
	v_lshlrev_b32_e32 v35, 2, v7
	ds_write2_b32 v35, v6, v4 offset1:2
	v_lshrrev_b32_e32 v4, 16, v11
	v_mul_f16_sdwa v6, v11, v32 dst_sel:DWORD dst_unused:UNUSED_PAD src0_sel:DWORD src1_sel:WORD_1
	v_fma_f16 v6, v4, v32, v6
	v_mul_f16_sdwa v4, v4, v32 dst_sel:DWORD dst_unused:UNUSED_PAD src0_sel:DWORD src1_sel:WORD_1
	v_fma_f16 v4, v11, v32, -v4
	v_lshrrev_b32_e32 v7, 16, v9
	v_sub_f16_e32 v4, v9, v4
	v_sub_f16_e32 v6, v7, v6
	s_movk_i32 s0, 0x7fc
	v_fma_f16 v7, v7, 2.0, -v6
	v_fma_f16 v9, v9, 2.0, -v4
	v_pack_b32_f16 v4, v4, v6
	v_and_or_b32 v6, v63, s0, v13
	v_pack_b32_f16 v7, v9, v7
	v_lshlrev_b32_e32 v37, 2, v6
	ds_write2_b32 v37, v7, v4 offset1:2
	v_lshrrev_b32_e32 v4, 16, v12
	v_mul_f16_sdwa v6, v4, v32 dst_sel:DWORD dst_unused:UNUSED_PAD src0_sel:DWORD src1_sel:WORD_1
	v_mul_f16_sdwa v7, v12, v32 dst_sel:DWORD dst_unused:UNUSED_PAD src0_sel:DWORD src1_sel:WORD_1
	v_fma_f16 v6, v12, v32, -v6
	v_fma_f16 v4, v4, v32, v7
	v_lshrrev_b32_e32 v7, 16, v10
	v_sub_f16_e32 v6, v10, v6
	v_sub_f16_e32 v4, v7, v4
	v_fma_f16 v9, v10, 2.0, -v6
	v_fma_f16 v7, v7, 2.0, -v4
	v_pack_b32_f16 v6, v6, v4
	v_lshlrev_b32_e32 v4, 1, v64
	v_pack_b32_f16 v7, v9, v7
	v_and_or_b32 v9, v4, s0, v13
	v_lshlrev_b32_e32 v38, 2, v9
	v_and_b32_e32 v15, 3, v28
	ds_write2_b32 v38, v7, v6 offset1:2
	v_lshlrev_b32_e32 v6, 2, v15
	s_waitcnt lgkmcnt(0)
	s_barrier
	global_load_dword v36, v6, s[14:15] offset:8
	s_movk_i32 s0, 0x1f8
	v_and_or_b32 v6, v3, s0, v15
	v_lshlrev_b32_e32 v39, 2, v6
	ds_read2_b32 v[6:7], v1 offset0:64 offset1:240
	ds_read2_b32 v[9:10], v30 offset1:176
	ds_read2_b32 v[11:12], v0 offset0:32 offset1:208
	ds_read2_b32 v[13:14], v2 offset0:32 offset1:208
	s_waitcnt lgkmcnt(0)
	v_lshrrev_b32_e32 v16, 16, v6
	v_lshrrev_b32_e32 v17, 16, v9
	;; [unrolled: 1-line block ×3, first 2 shown]
	s_waitcnt vmcnt(0)
	s_barrier
	s_movk_i32 s0, 0x3f8
	v_mul_f16_sdwa v19, v6, v36 dst_sel:DWORD dst_unused:UNUSED_PAD src0_sel:DWORD src1_sel:WORD_1
	v_mul_f16_sdwa v20, v16, v36 dst_sel:DWORD dst_unused:UNUSED_PAD src0_sel:DWORD src1_sel:WORD_1
	v_fma_f16 v16, v16, v36, v19
	v_fma_f16 v6, v6, v36, -v20
	v_sub_f16_e32 v6, v9, v6
	v_sub_f16_e32 v16, v17, v16
	v_fma_f16 v17, v17, 2.0, -v16
	v_pack_b32_f16 v16, v6, v16
	v_fma_f16 v6, v9, 2.0, -v6
	v_pack_b32_f16 v6, v6, v17
	ds_write2_b32 v39, v6, v16 offset1:4
	v_mul_f16_sdwa v6, v18, v36 dst_sel:DWORD dst_unused:UNUSED_PAD src0_sel:DWORD src1_sel:WORD_1
	v_fma_f16 v6, v7, v36, -v6
	v_mul_f16_sdwa v7, v7, v36 dst_sel:DWORD dst_unused:UNUSED_PAD src0_sel:DWORD src1_sel:WORD_1
	v_fma_f16 v7, v18, v36, v7
	v_lshrrev_b32_e32 v9, 16, v10
	v_sub_f16_e32 v6, v10, v6
	v_sub_f16_e32 v7, v9, v7
	v_fma_f16 v10, v10, 2.0, -v6
	v_fma_f16 v9, v9, 2.0, -v7
	v_pack_b32_f16 v6, v6, v7
	v_and_or_b32 v7, v5, s0, v15
	v_pack_b32_f16 v9, v10, v9
	v_lshlrev_b32_e32 v41, 2, v7
	ds_write2_b32 v41, v9, v6 offset1:4
	v_lshrrev_b32_e32 v6, 16, v13
	v_mul_f16_sdwa v7, v13, v36 dst_sel:DWORD dst_unused:UNUSED_PAD src0_sel:DWORD src1_sel:WORD_1
	v_fma_f16 v7, v6, v36, v7
	v_mul_f16_sdwa v6, v6, v36 dst_sel:DWORD dst_unused:UNUSED_PAD src0_sel:DWORD src1_sel:WORD_1
	v_fma_f16 v6, v13, v36, -v6
	v_lshrrev_b32_e32 v9, 16, v11
	v_sub_f16_e32 v6, v11, v6
	v_sub_f16_e32 v7, v9, v7
	s_movk_i32 s0, 0x7f8
	v_fma_f16 v9, v9, 2.0, -v7
	v_fma_f16 v10, v11, 2.0, -v6
	v_pack_b32_f16 v6, v6, v7
	v_and_or_b32 v7, v63, s0, v15
	v_pack_b32_f16 v9, v10, v9
	v_lshlrev_b32_e32 v43, 2, v7
	ds_write2_b32 v43, v9, v6 offset1:4
	v_lshrrev_b32_e32 v6, 16, v14
	v_mul_f16_sdwa v7, v6, v36 dst_sel:DWORD dst_unused:UNUSED_PAD src0_sel:DWORD src1_sel:WORD_1
	v_mul_f16_sdwa v9, v14, v36 dst_sel:DWORD dst_unused:UNUSED_PAD src0_sel:DWORD src1_sel:WORD_1
	v_fma_f16 v7, v14, v36, -v7
	v_fma_f16 v6, v6, v36, v9
	v_lshrrev_b32_e32 v9, 16, v12
	v_sub_f16_e32 v7, v12, v7
	v_sub_f16_e32 v6, v9, v6
	v_fma_f16 v10, v12, 2.0, -v7
	v_fma_f16 v9, v9, 2.0, -v6
	v_pack_b32_f16 v6, v7, v6
	v_and_or_b32 v7, v4, s0, v15
	v_pack_b32_f16 v9, v10, v9
	v_lshlrev_b32_e32 v44, 2, v7
	v_and_b32_e32 v15, 7, v28
	ds_write2_b32 v44, v9, v6 offset1:4
	v_lshlrev_b32_e32 v6, 2, v15
	s_waitcnt lgkmcnt(0)
	s_barrier
	global_load_dword v42, v6, s[14:15] offset:24
	s_movk_i32 s0, 0x1f0
	v_and_or_b32 v6, v3, s0, v15
	v_lshlrev_b32_e32 v45, 2, v6
	ds_read2_b32 v[6:7], v1 offset0:64 offset1:240
	ds_read2_b32 v[9:10], v30 offset1:176
	ds_read2_b32 v[11:12], v0 offset0:32 offset1:208
	ds_read2_b32 v[13:14], v2 offset0:32 offset1:208
	s_movk_i32 s0, 0x3f0
	s_waitcnt lgkmcnt(3)
	v_lshrrev_b32_e32 v16, 16, v6
	v_lshrrev_b32_e32 v18, 16, v7
	s_waitcnt lgkmcnt(2)
	v_lshrrev_b32_e32 v17, 16, v9
	v_lshrrev_b32_e32 v19, 16, v10
	s_waitcnt vmcnt(0) lgkmcnt(0)
	s_barrier
	v_mul_f16_sdwa v20, v6, v42 dst_sel:DWORD dst_unused:UNUSED_PAD src0_sel:DWORD src1_sel:WORD_1
	v_mul_f16_sdwa v40, v16, v42 dst_sel:DWORD dst_unused:UNUSED_PAD src0_sel:DWORD src1_sel:WORD_1
	;; [unrolled: 1-line block ×4, first 2 shown]
	v_fma_f16 v16, v16, v42, v20
	v_fma_f16 v6, v6, v42, -v40
	v_fma_f16 v7, v7, v42, -v46
	v_fma_f16 v18, v18, v42, v47
	v_sub_f16_e32 v6, v9, v6
	v_sub_f16_e32 v16, v17, v16
	;; [unrolled: 1-line block ×4, first 2 shown]
	v_fma_f16 v17, v17, 2.0, -v16
	v_pack_b32_f16 v16, v6, v16
	v_fma_f16 v6, v9, 2.0, -v6
	v_fma_f16 v9, v10, 2.0, -v7
	;; [unrolled: 1-line block ×3, first 2 shown]
	v_pack_b32_f16 v6, v6, v17
	ds_write2_b32 v45, v6, v16 offset1:8
	v_pack_b32_f16 v6, v9, v10
	v_and_or_b32 v9, v5, s0, v15
	v_pack_b32_f16 v7, v7, v18
	v_lshlrev_b32_e32 v46, 2, v9
	ds_write2_b32 v46, v6, v7 offset1:8
	v_lshrrev_b32_e32 v6, 16, v13
	v_mul_f16_sdwa v7, v13, v42 dst_sel:DWORD dst_unused:UNUSED_PAD src0_sel:DWORD src1_sel:WORD_1
	v_fma_f16 v7, v6, v42, v7
	v_mul_f16_sdwa v6, v6, v42 dst_sel:DWORD dst_unused:UNUSED_PAD src0_sel:DWORD src1_sel:WORD_1
	v_fma_f16 v6, v13, v42, -v6
	v_lshrrev_b32_e32 v9, 16, v11
	v_sub_f16_e32 v6, v11, v6
	v_sub_f16_e32 v7, v9, v7
	s_movk_i32 s0, 0x7f0
	v_fma_f16 v9, v9, 2.0, -v7
	v_fma_f16 v10, v11, 2.0, -v6
	v_pack_b32_f16 v6, v6, v7
	v_and_or_b32 v7, v63, s0, v15
	v_pack_b32_f16 v9, v10, v9
	v_lshlrev_b32_e32 v48, 2, v7
	ds_write2_b32 v48, v9, v6 offset1:8
	v_lshrrev_b32_e32 v6, 16, v14
	v_mul_f16_sdwa v7, v6, v42 dst_sel:DWORD dst_unused:UNUSED_PAD src0_sel:DWORD src1_sel:WORD_1
	v_mul_f16_sdwa v9, v14, v42 dst_sel:DWORD dst_unused:UNUSED_PAD src0_sel:DWORD src1_sel:WORD_1
	v_fma_f16 v7, v14, v42, -v7
	v_fma_f16 v6, v6, v42, v9
	v_lshrrev_b32_e32 v9, 16, v12
	v_sub_f16_e32 v7, v12, v7
	v_sub_f16_e32 v6, v9, v6
	v_fma_f16 v10, v12, 2.0, -v7
	v_fma_f16 v9, v9, 2.0, -v6
	v_pack_b32_f16 v6, v7, v6
	v_and_or_b32 v7, v4, s0, v15
	v_pack_b32_f16 v9, v10, v9
	v_lshlrev_b32_e32 v49, 2, v7
	v_and_b32_e32 v15, 15, v28
	ds_write2_b32 v49, v9, v6 offset1:8
	v_lshlrev_b32_e32 v6, 2, v15
	s_waitcnt lgkmcnt(0)
	s_barrier
	global_load_dword v47, v6, s[14:15] offset:56
	s_movk_i32 s0, 0x1e0
	v_and_or_b32 v6, v3, s0, v15
	v_lshlrev_b32_e32 v51, 2, v6
	v_and_or_b32 v6, v5, s1, v15
	v_lshlrev_b32_e32 v50, 2, v6
	ds_read2_b32 v[6:7], v1 offset0:64 offset1:240
	ds_read2_b32 v[9:10], v30 offset1:176
	ds_read2_b32 v[11:12], v0 offset0:32 offset1:208
	ds_read2_b32 v[13:14], v2 offset0:32 offset1:208
	s_waitcnt lgkmcnt(0)
	v_lshrrev_b32_e32 v16, 16, v6
	v_lshrrev_b32_e32 v18, 16, v7
	;; [unrolled: 1-line block ×5, first 2 shown]
	s_waitcnt vmcnt(0)
	s_barrier
	s_movk_i32 s0, 0x7e0
	s_movk_i32 s1, 0x3c0
	v_mul_f16_sdwa v40, v6, v47 dst_sel:DWORD dst_unused:UNUSED_PAD src0_sel:DWORD src1_sel:WORD_1
	v_mul_f16_sdwa v52, v16, v47 dst_sel:DWORD dst_unused:UNUSED_PAD src0_sel:DWORD src1_sel:WORD_1
	;; [unrolled: 1-line block ×4, first 2 shown]
	v_fma_f16 v16, v16, v47, v40
	v_fma_f16 v6, v6, v47, -v52
	v_fma_f16 v7, v7, v47, -v53
	v_fma_f16 v18, v18, v47, v54
	v_sub_f16_e32 v6, v9, v6
	v_sub_f16_e32 v16, v17, v16
	;; [unrolled: 1-line block ×4, first 2 shown]
	v_fma_f16 v17, v17, 2.0, -v16
	v_pack_b32_f16 v16, v6, v16
	v_fma_f16 v6, v9, 2.0, -v6
	v_fma_f16 v9, v10, 2.0, -v7
	;; [unrolled: 1-line block ×3, first 2 shown]
	v_pack_b32_f16 v6, v6, v17
	v_mul_f16_sdwa v55, v13, v47 dst_sel:DWORD dst_unused:UNUSED_PAD src0_sel:DWORD src1_sel:WORD_1
	v_pack_b32_f16 v7, v7, v18
	v_pack_b32_f16 v9, v9, v10
	ds_write2_b32 v51, v6, v16 offset1:16
	ds_write2_b32 v50, v9, v7 offset1:16
	v_mul_f16_sdwa v6, v20, v47 dst_sel:DWORD dst_unused:UNUSED_PAD src0_sel:DWORD src1_sel:WORD_1
	v_fma_f16 v40, v20, v47, v55
	v_fma_f16 v6, v13, v47, -v6
	v_lshrrev_b32_e32 v7, 16, v11
	v_sub_f16_e32 v6, v11, v6
	v_sub_f16_e32 v9, v7, v40
	v_fma_f16 v7, v7, 2.0, -v9
	v_fma_f16 v10, v11, 2.0, -v6
	v_pack_b32_f16 v6, v6, v9
	v_and_or_b32 v9, v63, s0, v15
	v_pack_b32_f16 v7, v10, v7
	v_lshlrev_b32_e32 v52, 2, v9
	ds_write2_b32 v52, v7, v6 offset1:16
	v_lshrrev_b32_e32 v6, 16, v14
	v_mul_f16_sdwa v7, v6, v47 dst_sel:DWORD dst_unused:UNUSED_PAD src0_sel:DWORD src1_sel:WORD_1
	v_mul_f16_sdwa v9, v14, v47 dst_sel:DWORD dst_unused:UNUSED_PAD src0_sel:DWORD src1_sel:WORD_1
	v_fma_f16 v7, v14, v47, -v7
	v_fma_f16 v6, v6, v47, v9
	v_lshrrev_b32_e32 v9, 16, v12
	v_sub_f16_e32 v7, v12, v7
	v_sub_f16_e32 v6, v9, v6
	v_fma_f16 v10, v12, 2.0, -v7
	v_fma_f16 v9, v9, 2.0, -v6
	v_pack_b32_f16 v6, v7, v6
	v_and_or_b32 v7, v4, s0, v15
	v_pack_b32_f16 v9, v10, v9
	v_lshlrev_b32_e32 v55, 2, v7
	v_and_b32_e32 v7, 31, v28
	ds_write2_b32 v55, v9, v6 offset1:16
	v_lshlrev_b32_e32 v6, 2, v7
	v_and_b32_e32 v19, 31, v64
	s_waitcnt lgkmcnt(0)
	s_barrier
	global_load_dword v53, v6, s[14:15] offset:120
	v_lshlrev_b32_e32 v6, 2, v19
	global_load_dword v54, v6, s[14:15] offset:120
	v_and_b32_e32 v9, 31, v60
	v_lshlrev_b32_e32 v10, 2, v9
	global_load_ushort v56, v10, s[14:15] offset:120
	global_load_ushort v57, v6, s[14:15] offset:122
	s_movk_i32 s0, 0x1c0
	v_and_or_b32 v3, v3, s0, v7
	v_lshlrev_b32_e32 v58, 2, v3
	v_and_or_b32 v3, v5, s1, v9
	v_lshlrev_b32_e32 v59, 2, v3
	ds_read2_b32 v[5:6], v1 offset0:64 offset1:240
	ds_read2_b32 v[0:1], v0 offset0:32 offset1:208
	ds_read2_b32 v[2:3], v2 offset0:32 offset1:208
	ds_read2_b32 v[9:10], v30 offset1:176
	s_waitcnt lgkmcnt(0)
	v_lshrrev_b32_e32 v11, 16, v5
	v_lshrrev_b32_e32 v12, 16, v6
	;; [unrolled: 1-line block ×5, first 2 shown]
	s_waitcnt vmcnt(0)
	s_barrier
	s_movk_i32 s0, 0x7c0
	v_mul_f16_sdwa v14, v5, v53 dst_sel:DWORD dst_unused:UNUSED_PAD src0_sel:DWORD src1_sel:WORD_1
	v_mul_f16_sdwa v17, v11, v53 dst_sel:DWORD dst_unused:UNUSED_PAD src0_sel:DWORD src1_sel:WORD_1
	;; [unrolled: 1-line block ×4, first 2 shown]
	v_fma_f16 v11, v11, v53, v14
	v_fma_f16 v5, v5, v53, -v17
	v_mul_f16_sdwa v40, v2, v53 dst_sel:DWORD dst_unused:UNUSED_PAD src0_sel:DWORD src1_sel:WORD_1
	v_fma_f16 v6, v6, v56, -v18
	v_fma_f16 v17, v12, v56, v20
	v_sub_f16_e32 v66, v15, v11
	v_sub_f16_e32 v14, v9, v5
	v_mul_f16_sdwa v61, v13, v53 dst_sel:DWORD dst_unused:UNUSED_PAD src0_sel:DWORD src1_sel:WORD_1
	v_fma_f16 v18, v13, v53, v40
	v_sub_f16_e32 v12, v10, v6
	v_sub_f16_e32 v67, v16, v17
	v_fma_f16 v13, v9, 2.0, -v14
	v_fma_f16 v65, v15, 2.0, -v66
	v_pack_b32_f16 v5, v14, v66
	v_fma_f16 v11, v10, 2.0, -v12
	v_fma_f16 v68, v16, 2.0, -v67
	v_pack_b32_f16 v9, v13, v65
	v_fma_f16 v2, v2, v53, -v61
	v_pack_b32_f16 v6, v12, v67
	v_pack_b32_f16 v10, v11, v68
	ds_write2_b32 v58, v9, v5 offset1:32
	ds_write2_b32 v59, v10, v6 offset1:32
	v_lshrrev_b32_e32 v5, 16, v0
	v_sub_f16_e32 v70, v5, v18
	v_sub_f16_e32 v16, v0, v2
	v_fma_f16 v15, v0, 2.0, -v16
	v_fma_f16 v69, v5, 2.0, -v70
	v_and_or_b32 v0, v63, s0, v7
	v_lshlrev_b32_e32 v61, 2, v0
	v_pack_b32_f16 v0, v15, v69
	v_pack_b32_f16 v2, v16, v70
	ds_write2_b32 v61, v0, v2 offset1:32
	v_lshrrev_b32_e32 v0, 16, v3
	v_mul_f16_e32 v2, v0, v57
	v_fma_f16 v2, v3, v54, -v2
	v_sub_f16_e32 v18, v1, v2
	v_mul_f16_e32 v2, v3, v57
	v_fma_f16 v17, v1, 2.0, -v18
	v_lshrrev_b32_e32 v1, 16, v1
	v_fma_f16 v0, v0, v54, v2
	v_sub_f16_e32 v76, v1, v0
	v_and_or_b32 v2, v4, s0, v19
	v_fma_f16 v82, v1, 2.0, -v76
	s_movk_i32 s0, 0x80
	v_lshlrev_b32_e32 v62, 2, v2
	v_pack_b32_f16 v0, v17, v82
	v_pack_b32_f16 v1, v18, v76
	v_cmp_gt_u16_e64 s[0:1], s0, v28
	ds_write2_b32 v62, v0, v1 offset1:32
	s_waitcnt lgkmcnt(0)
	s_barrier
	s_waitcnt lgkmcnt(0)
                                        ; implicit-def: $vgpr19
	s_and_saveexec_b64 s[2:3], s[0:1]
	s_cbranch_execz .LBB0_3
; %bb.2:
	ds_read2st64_b32 v[13:14], v30 offset1:2
	ds_read2st64_b32 v[11:12], v30 offset0:4 offset1:6
	ds_read2st64_b32 v[15:16], v30 offset0:8 offset1:10
	;; [unrolled: 1-line block ×4, first 2 shown]
	ds_read_b32 v85, v30 offset:5120
	s_waitcnt lgkmcnt(5)
	v_lshrrev_b32_e32 v65, 16, v13
	v_lshrrev_b32_e32 v66, 16, v14
	s_waitcnt lgkmcnt(4)
	v_lshrrev_b32_e32 v68, 16, v11
	v_lshrrev_b32_e32 v67, 16, v12
	;; [unrolled: 3-line block ×5, first 2 shown]
	s_waitcnt lgkmcnt(0)
	v_lshrrev_b32_e32 v87, 16, v85
.LBB0_3:
	s_or_b64 exec, exec, s[2:3]
	v_and_b32_e32 v40, 63, v28
	v_mad_u64_u32 v[71:72], s[2:3], v40, 40, s[14:15]
	s_movk_i32 s6, 0x3abb
	s_movk_i32 s7, 0x36a6
	global_load_dwordx4 v[0:3], v[71:72], off offset:248
	global_load_dwordx4 v[4:7], v[71:72], off offset:264
	global_load_dwordx2 v[9:10], v[71:72], off offset:280
	s_mov_b32 s12, 0xb08e
	s_mov_b32 s16, 0xb93d
	;; [unrolled: 1-line block ×7, first 2 shown]
	s_movk_i32 s26, 0x3482
	s_movk_i32 s19, 0x3b47
	;; [unrolled: 1-line block ×3, first 2 shown]
	s_mov_b32 s20, 0xb482
	s_movk_i32 s24, 0x3853
	s_waitcnt vmcnt(0)
	s_barrier
	v_mul_f16_sdwa v71, v66, v0 dst_sel:DWORD dst_unused:UNUSED_PAD src0_sel:DWORD src1_sel:WORD_1
	v_mul_f16_sdwa v72, v14, v0 dst_sel:DWORD dst_unused:UNUSED_PAD src0_sel:DWORD src1_sel:WORD_1
	;; [unrolled: 1-line block ×18, first 2 shown]
	v_fma_f16 v75, v14, v0, -v71
	v_fma_f16 v66, v66, v0, v72
	v_fma_f16 v77, v11, v1, -v73
	v_fma_f16 v73, v69, v3, v81
	;; [unrolled: 2-line block ×5, first 2 shown]
	v_fma_f16 v71, v68, v1, v74
	v_fma_f16 v72, v67, v2, v79
	v_fma_f16 v79, v15, v3, -v80
	v_fma_f16 v80, v16, v4, -v83
	;; [unrolled: 1-line block ×3, first 2 shown]
	v_fma_f16 v19, v84, v7, v94
	v_fma_f16 v84, v20, v9, -v95
	v_fma_f16 v20, v86, v9, v96
	v_sub_f16_e32 v101, v75, v85
	v_sub_f16_e32 v106, v66, v76
	v_mul_f16_sdwa v88, v16, v4 dst_sel:DWORD dst_unused:UNUSED_PAD src0_sel:DWORD src1_sel:WORD_1
	v_add_f16_e32 v96, v75, v85
	v_add_f16_e32 v113, v66, v76
	v_sub_f16_e32 v102, v77, v84
	v_sub_f16_e32 v107, v71, v20
	v_mul_f16_e32 v86, 0xb853, v106
	v_mul_f16_e32 v90, 0xbb47, v106
	;; [unrolled: 1-line block ×3, first 2 shown]
	v_mul_f16_sdwa v78, v67, v2 dst_sel:DWORD dst_unused:UNUSED_PAD src0_sel:DWORD src1_sel:WORD_1
	v_fma_f16 v74, v70, v4, v88
	v_add_f16_e32 v97, v77, v84
	v_add_f16_e32 v114, v71, v20
	v_mul_f16_e32 v88, 0xb853, v101
	v_mul_f16_e32 v94, 0xbbeb, v106
	;; [unrolled: 1-line block ×5, first 2 shown]
	v_fma_f16 v11, v96, s6, v86
	v_fma_f16 v14, v96, s7, v90
	v_fma_f16 v15, v113, s7, -v92
	v_fma_f16 v78, v12, v2, -v78
	v_mul_f16_e32 v89, 0xbb47, v102
	v_mul_f16_e32 v95, 0x3482, v107
	v_fma_f16 v12, v113, s6, -v88
	v_fma_f16 v16, v96, s12, v94
	v_fma_f16 v68, v97, s7, v87
	;; [unrolled: 1-line block ×3, first 2 shown]
	v_fma_f16 v100, v114, s16, -v93
	v_add_f16_e32 v11, v13, v11
	v_add_f16_e32 v14, v13, v14
	;; [unrolled: 1-line block ×3, first 2 shown]
	v_sub_f16_e32 v123, v72, v19
	v_fma_f16 v69, v114, s7, -v89
	v_fma_f16 v103, v97, s17, v95
	v_add_f16_e32 v12, v65, v12
	v_add_f16_e32 v16, v13, v16
	;; [unrolled: 1-line block ×6, first 2 shown]
	v_mul_f16_e32 v100, 0x3482, v123
	v_add_f16_e32 v69, v69, v12
	v_add_f16_e32 v12, v103, v16
	v_fma_f16 v16, v105, s17, v100
	v_mul_f16_e32 v104, 0x3b47, v123
	v_sub_f16_e32 v126, v73, v18
	v_add_f16_e32 v11, v16, v11
	v_fma_f16 v16, v105, s7, v104
	v_add_f16_e32 v116, v79, v82
	v_mul_f16_e32 v103, 0x3beb, v126
	v_add_f16_e32 v12, v16, v12
	v_fma_f16 v16, v116, s12, v103
	v_mul_f16_e32 v112, 0xb853, v126
	v_sub_f16_e32 v130, v74, v17
	v_add_f16_e32 v11, v16, v11
	v_fma_f16 v16, v116, s6, v112
	v_add_f16_e32 v120, v80, v81
	v_mul_f16_e32 v110, 0x3853, v130
	v_add_f16_e32 v16, v16, v12
	v_fma_f16 v12, v120, s6, v110
	v_mul_f16_e32 v119, 0xba0c, v130
	v_mul_f16_e32 v98, 0xbbeb, v101
	v_sub_f16_e32 v109, v78, v83
	v_add_f16_e32 v12, v12, v11
	v_fma_f16 v11, v120, s16, v119
	v_mul_f16_e32 v108, 0xbbeb, v123
	v_mul_f16_e32 v99, 0x3482, v102
	v_fma_f16 v67, v113, s12, -v98
	v_add_f16_e32 v125, v72, v19
	v_add_f16_e32 v11, v11, v16
	v_fma_f16 v16, v105, s12, v108
	v_mul_f16_e32 v121, 0x3482, v109
	v_add_f16_e32 v67, v65, v67
	v_fma_f16 v15, v114, s17, -v99
	v_add_f16_e32 v16, v16, v68
	v_fma_f16 v68, v125, s17, -v121
	v_mul_f16_e32 v127, 0x3b47, v109
	v_add_f16_e32 v15, v15, v67
	v_mul_f16_e32 v115, 0xbbeb, v109
	v_add_f16_e32 v14, v68, v14
	v_fma_f16 v68, v125, s7, -v127
	v_mul_f16_e32 v111, 0xba0c, v126
	v_sub_f16_e32 v132, v79, v82
	v_fma_f16 v67, v125, s12, -v115
	v_add_f16_e32 v15, v68, v15
	v_fma_f16 v68, v116, s16, v111
	v_add_f16_e32 v134, v73, v18
	v_mul_f16_e32 v118, 0xba0c, v132
	v_add_f16_e32 v67, v67, v69
	v_add_f16_e32 v16, v68, v16
	v_fma_f16 v68, v134, s16, -v118
	v_mul_f16_e32 v124, 0x3beb, v132
	v_add_f16_e32 v67, v68, v67
	v_fma_f16 v68, v134, s12, -v124
	v_mul_f16_e32 v129, 0xb853, v132
	;; [unrolled: 3-line block ×3, first 2 shown]
	v_sub_f16_e32 v133, v80, v81
	v_add_f16_e32 v15, v68, v15
	v_fma_f16 v68, v120, s17, v117
	v_add_f16_e32 v135, v74, v17
	v_mul_f16_e32 v122, 0xb482, v133
	v_add_f16_e32 v69, v68, v16
	v_fma_f16 v16, v135, s17, -v122
	v_mul_f16_e32 v128, 0x3853, v133
	v_add_f16_e32 v70, v16, v67
	v_fma_f16 v16, v135, s6, -v128
	;; [unrolled: 3-line block ×3, first 2 shown]
	v_add_f16_e32 v67, v14, v15
	v_lshlrev_b32_e32 v16, 3, v60
	v_lshlrev_b32_e32 v15, 2, v63
	;; [unrolled: 1-line block ×3, first 2 shown]
	v_lshrrev_b32_e32 v60, 6, v28
	s_and_saveexec_b64 s[2:3], s[0:1]
	s_cbranch_execz .LBB0_5
; %bb.4:
	v_mul_f16_e32 v164, 0xb93d, v113
	s_movk_i32 s27, 0x3a0c
	v_fma_f16 v165, v101, s27, v164
	v_mul_f16_e32 v166, 0xb08e, v114
	v_add_f16_e32 v165, v65, v165
	v_fma_f16 v167, v102, s23, v166
	v_add_f16_e32 v165, v167, v165
	v_mul_f16_e32 v167, 0x3abb, v125
	v_fma_f16 v168, v109, s24, v167
	v_add_f16_e32 v165, v168, v165
	v_mul_f16_e32 v168, 0xbbad, v134
	;; [unrolled: 3-line block ×4, first 2 shown]
	v_fma_f16 v171, v96, s16, v170
	v_mul_f16_e32 v172, 0x3beb, v107
	v_add_f16_e32 v171, v13, v171
	v_fma_f16 v173, v97, s12, v172
	v_add_f16_e32 v171, v173, v171
	v_mul_f16_e32 v173, 0xb853, v123
	v_fma_f16 v174, v105, s6, v173
	v_add_f16_e32 v171, v174, v171
	v_mul_f16_e32 v174, 0xb482, v126
	;; [unrolled: 3-line block ×3, first 2 shown]
	v_mul_f16_e32 v64, 0x3abb, v113
	v_mul_f16_e32 v137, 0x36a6, v113
	v_mul_f16_e32 v139, 0xb08e, v113
	v_fma_f16 v176, v120, s7, v175
	v_mul_f16_e32 v113, 0xbbad, v113
	v_mul_f16_e32 v141, 0x36a6, v114
	v_mul_f16_e32 v143, 0xb93d, v114
	v_mul_f16_e32 v145, 0xbbad, v114
	v_add_f16_e32 v171, v176, v171
	v_fma_f16 v176, v101, s26, v113
	v_mul_f16_e32 v114, 0x3abb, v114
	v_mul_f16_e32 v147, 0xb08e, v125
	v_mul_f16_e32 v149, 0xbbad, v125
	v_mul_f16_e32 v151, 0x36a6, v125
	v_add_f16_e32 v176, v65, v176
	;; [unrolled: 6-line block ×4, first 2 shown]
	v_fma_f16 v177, v132, s25, v134
	v_mul_f16_e32 v135, 0xb08e, v135
	v_add_f16_e32 v176, v177, v176
	v_fma_f16 v177, v133, s22, v135
	v_mul_f16_e32 v106, 0xb482, v106
	v_mul_f16_e32 v63, 0x3abb, v96
	v_mul_f16_e32 v136, 0x36a6, v96
	v_mul_f16_e32 v138, 0xb08e, v96
	v_add_f16_e32 v176, v177, v176
	v_fma_f16 v177, v96, s17, v106
	v_mul_f16_e32 v107, 0x3853, v107
	v_fma_f16 v106, v96, s17, -v106
	v_fma_f16 v96, v96, s16, -v170
	v_mul_f16_e32 v140, 0x36a6, v97
	v_mul_f16_e32 v142, 0xb93d, v97
	;; [unrolled: 1-line block ×3, first 2 shown]
	v_fma_f16 v178, v97, s6, v107
	v_fma_f16 v107, v97, s6, -v107
	v_add_f16_e32 v96, v13, v96
	v_fma_f16 v97, v97, s12, -v172
	v_add_f16_e32 v96, v97, v96
	;; [unrolled: 2-line block ×4, first 2 shown]
	v_fma_f16 v97, v120, s7, -v175
	v_fma_f16 v113, v101, s20, v113
	v_fma_f16 v101, v101, s21, v164
	v_add_f16_e32 v96, v97, v96
	v_add_f16_e32 v97, v98, v139
	v_sub_f16_e32 v94, v138, v94
	v_add_f16_e32 v92, v92, v137
	v_sub_f16_e32 v90, v136, v90
	v_add_f16_e32 v64, v88, v64
	v_sub_f16_e32 v63, v63, v86
	v_add_f16_e32 v177, v13, v177
	v_add_f16_e32 v113, v65, v113
	;; [unrolled: 1-line block ×20, first 2 shown]
	v_mul_f16_e32 v146, 0xb08e, v105
	v_add_f16_e32 v88, v89, v141
	v_sub_f16_e32 v86, v140, v87
	v_add_f16_e32 v13, v13, v81
	v_add_f16_e32 v17, v65, v17
	v_mul_f16_e32 v148, 0xbbad, v105
	v_mul_f16_e32 v150, 0x36a6, v105
	;; [unrolled: 1-line block ×3, first 2 shown]
	v_add_f16_e32 v98, v99, v145
	v_sub_f16_e32 v95, v144, v95
	v_add_f16_e32 v93, v93, v143
	v_sub_f16_e32 v91, v142, v91
	v_add_f16_e32 v64, v88, v64
	v_add_f16_e32 v88, v115, v147
	;; [unrolled: 1-line block ×3, first 2 shown]
	v_sub_f16_e32 v86, v146, v108
	v_add_f16_e32 v13, v13, v82
	v_add_f16_e32 v17, v17, v18
	v_mul_f16_e32 v154, 0xb08e, v116
	v_mul_f16_e32 v156, 0x3abb, v116
	;; [unrolled: 1-line block ×4, first 2 shown]
	v_fma_f16 v114, v102, s24, v114
	v_fma_f16 v102, v102, s22, v166
	v_add_f16_e32 v97, v98, v97
	v_add_f16_e32 v98, v127, v151
	v_add_f16_e32 v94, v95, v94
	v_sub_f16_e32 v95, v150, v104
	v_add_f16_e32 v92, v93, v92
	v_add_f16_e32 v93, v121, v149
	v_add_f16_e32 v90, v91, v90
	v_sub_f16_e32 v91, v148, v100
	;; [unrolled: 4-line block ×3, first 2 shown]
	v_add_f16_e32 v13, v13, v83
	v_add_f16_e32 v17, v17, v19
	v_mul_f16_e32 v160, 0x3abb, v120
	v_mul_f16_e32 v162, 0xb93d, v120
	v_mul_f16_e32 v126, 0x3b47, v126
	v_add_f16_e32 v113, v114, v113
	v_fma_f16 v114, v109, s21, v125
	v_add_f16_e32 v106, v107, v106
	v_fma_f16 v107, v105, s16, -v123
	v_add_f16_e32 v101, v102, v101
	v_fma_f16 v102, v109, s18, v167
	v_add_f16_e32 v97, v98, v97
	v_add_f16_e32 v98, v129, v157
	v_add_f16_e32 v94, v95, v94
	v_sub_f16_e32 v95, v156, v112
	v_add_f16_e32 v92, v93, v92
	v_add_f16_e32 v93, v124, v155
	v_add_f16_e32 v90, v91, v90
	v_sub_f16_e32 v91, v154, v103
	;; [unrolled: 4-line block ×3, first 2 shown]
	v_add_f16_e32 v13, v13, v84
	v_add_f16_e32 v17, v17, v20
	v_mul_u32_u24_e32 v18, 0x2c0, v60
	v_add_f16_e32 v177, v178, v177
	v_fma_f16 v178, v105, s16, v123
	v_mul_f16_e32 v130, 0xbbeb, v130
	v_add_f16_e32 v113, v114, v113
	v_fma_f16 v114, v132, s19, v134
	v_add_f16_e32 v106, v107, v106
	v_fma_f16 v107, v116, s7, -v126
	v_add_f16_e32 v101, v102, v101
	v_fma_f16 v102, v132, s20, v168
	v_add_f16_e32 v97, v98, v97
	v_add_f16_e32 v98, v131, v163
	;; [unrolled: 1-line block ×3, first 2 shown]
	v_sub_f16_e32 v95, v162, v119
	v_add_f16_e32 v92, v93, v92
	v_add_f16_e32 v93, v128, v161
	v_add_f16_e32 v90, v91, v90
	v_sub_f16_e32 v91, v160, v110
	v_add_f16_e32 v64, v88, v64
	v_add_f16_e32 v63, v86, v63
	;; [unrolled: 1-line block ×4, first 2 shown]
	v_or_b32_e32 v18, v18, v40
	v_add_f16_e32 v177, v178, v177
	v_fma_f16 v178, v116, s7, v126
	v_add_f16_e32 v113, v114, v113
	v_fma_f16 v114, v133, s23, v135
	v_add_f16_e32 v106, v107, v106
	v_fma_f16 v107, v120, s12, -v130
	v_add_f16_e32 v101, v102, v101
	v_fma_f16 v102, v133, s19, v169
	v_add_f16_e32 v97, v98, v97
	v_add_f16_e32 v94, v95, v94
	;; [unrolled: 1-line block ×4, first 2 shown]
	v_lshlrev_b32_e32 v18, 2, v18
	v_pack_b32_f16 v13, v13, v17
	v_pack_b32_f16 v17, v63, v64
	v_add_f16_e32 v177, v178, v177
	v_fma_f16 v178, v120, s12, v130
	v_add_f16_e32 v113, v114, v113
	v_add_f16_e32 v106, v107, v106
	;; [unrolled: 1-line block ×3, first 2 shown]
	ds_write2st64_b32 v18, v13, v17 offset1:1
	v_pack_b32_f16 v13, v90, v92
	v_pack_b32_f16 v17, v94, v97
	v_add_f16_e32 v177, v178, v177
	ds_write2st64_b32 v18, v13, v17 offset0:2 offset1:3
	v_pack_b32_f16 v13, v96, v101
	v_pack_b32_f16 v17, v106, v113
	ds_write2st64_b32 v18, v13, v17 offset0:4 offset1:5
	v_pack_b32_f16 v13, v177, v176
	v_pack_b32_f16 v17, v171, v165
	s_mov_b32 s6, 0x5040100
	ds_write2st64_b32 v18, v13, v17 offset0:6 offset1:7
	v_perm_b32 v13, v67, v11, s6
	v_perm_b32 v17, v68, v12, s6
	ds_write2st64_b32 v18, v13, v17 offset0:8 offset1:9
	v_perm_b32 v13, v70, v69, s6
	ds_write_b32 v18, v13 offset:2560
.LBB0_5:
	s_or_b64 exec, exec, s[2:3]
	v_mov_b32_e32 v13, s15
	v_add_co_u32_e64 v17, s[2:3], s14, v30
	s_waitcnt lgkmcnt(0)
	s_barrier
	global_load_dword v63, v30, s[14:15] offset:2808
	global_load_dword v64, v30, s[14:15] offset:3512
	s_movk_i32 s6, 0x1000
	v_addc_co_u32_e64 v13, s[2:3], 0, v13, s[2:3]
	v_add_co_u32_e64 v17, s[2:3], s6, v17
	v_addc_co_u32_e64 v18, s[2:3], 0, v13, s[2:3]
	global_load_dword v65, v[17:18], off offset:120
	global_load_dword v66, v[17:18], off offset:824
	v_mov_b32_e32 v71, s13
	v_add_u32_e32 v18, 0xa00, v30
	ds_read2_b32 v[19:20], v30 offset1:176
	v_add_u32_e32 v17, 0x500, v30
	v_add_u32_e32 v13, 0x1000, v30
	v_addc_co_u32_e32 v80, vcc, 0, v71, vcc
	ds_read2_b32 v[71:72], v18 offset0:64 offset1:240
	ds_read2_b32 v[73:74], v17 offset0:32 offset1:208
	;; [unrolled: 1-line block ×3, first 2 shown]
	s_waitcnt lgkmcnt(3)
	v_lshrrev_b32_e32 v81, 16, v19
	v_lshrrev_b32_e32 v82, 16, v20
	s_waitcnt lgkmcnt(2)
	v_lshrrev_b32_e32 v83, 16, v71
	v_lshrrev_b32_e32 v84, 16, v72
	;; [unrolled: 3-line block ×3, first 2 shown]
	v_lshrrev_b32_e32 v85, 16, v73
	v_lshrrev_b32_e32 v87, 16, v74
	v_add_co_u32_e32 v77, vcc, s6, v31
	v_add_u32_e32 v79, 0xd00, v30
	s_movk_i32 s2, 0x1600
	v_addc_co_u32_e32 v78, vcc, 0, v80, vcc
	s_waitcnt vmcnt(3)
	v_mul_f16_sdwa v89, v83, v63 dst_sel:DWORD dst_unused:UNUSED_PAD src0_sel:DWORD src1_sel:WORD_1
	v_mul_f16_sdwa v90, v71, v63 dst_sel:DWORD dst_unused:UNUSED_PAD src0_sel:DWORD src1_sel:WORD_1
	s_waitcnt vmcnt(2)
	v_mul_f16_sdwa v91, v84, v64 dst_sel:DWORD dst_unused:UNUSED_PAD src0_sel:DWORD src1_sel:WORD_1
	v_mul_f16_sdwa v92, v72, v64 dst_sel:DWORD dst_unused:UNUSED_PAD src0_sel:DWORD src1_sel:WORD_1
	v_fma_f16 v71, v71, v63, -v89
	v_fma_f16 v83, v83, v63, v90
	v_fma_f16 v72, v72, v64, -v91
	v_fma_f16 v84, v84, v64, v92
	v_sub_f16_e32 v71, v19, v71
	v_sub_f16_e32 v83, v81, v83
	;; [unrolled: 1-line block ×4, first 2 shown]
	s_waitcnt vmcnt(1)
	v_mul_f16_sdwa v89, v86, v65 dst_sel:DWORD dst_unused:UNUSED_PAD src0_sel:DWORD src1_sel:WORD_1
	v_mul_f16_sdwa v90, v75, v65 dst_sel:DWORD dst_unused:UNUSED_PAD src0_sel:DWORD src1_sel:WORD_1
	s_waitcnt vmcnt(0)
	v_mul_f16_sdwa v91, v88, v66 dst_sel:DWORD dst_unused:UNUSED_PAD src0_sel:DWORD src1_sel:WORD_1
	v_mul_f16_sdwa v92, v76, v66 dst_sel:DWORD dst_unused:UNUSED_PAD src0_sel:DWORD src1_sel:WORD_1
	v_fma_f16 v19, v19, 2.0, -v71
	v_fma_f16 v81, v81, 2.0, -v83
	;; [unrolled: 1-line block ×4, first 2 shown]
	v_pack_b32_f16 v71, v71, v83
	v_fma_f16 v75, v75, v65, -v89
	v_fma_f16 v83, v86, v65, v90
	v_pack_b32_f16 v72, v72, v84
	v_fma_f16 v76, v76, v66, -v91
	v_fma_f16 v84, v88, v66, v92
	v_pack_b32_f16 v19, v19, v81
	ds_write_b32 v30, v71 offset:2816
	v_pack_b32_f16 v20, v20, v82
	v_sub_f16_e32 v71, v73, v75
	v_sub_f16_e32 v75, v85, v83
	;; [unrolled: 1-line block ×4, first 2 shown]
	ds_write2_b32 v30, v19, v20 offset1:176
	v_fma_f16 v19, v73, 2.0, -v71
	v_fma_f16 v20, v85, 2.0, -v75
	;; [unrolled: 1-line block ×4, first 2 shown]
	v_pack_b32_f16 v71, v71, v75
	v_pack_b32_f16 v75, v76, v81
	;; [unrolled: 1-line block ×3, first 2 shown]
	ds_write2_b32 v79, v72, v71 offset0:48 offset1:224
	v_pack_b32_f16 v20, v73, v74
	ds_write_b32 v30, v75 offset:4928
	ds_write2_b32 v17, v19, v20 offset0:32 offset1:208
	s_waitcnt lgkmcnt(0)
	s_barrier
	global_load_dword v73, v[77:78], off offset:1536
	v_add_co_u32_e32 v19, vcc, s2, v31
	v_addc_co_u32_e32 v20, vcc, 0, v80, vcc
	global_load_dword v74, v[19:20], off offset:704
	s_movk_i32 s2, 0x2000
	v_add_co_u32_e32 v71, vcc, s2, v31
	v_addc_co_u32_e32 v72, vcc, 0, v80, vcc
	global_load_dword v31, v[19:20], off offset:2816
	global_load_dword v75, v[71:72], off offset:1664
	;; [unrolled: 1-line block ×6, first 2 shown]
	ds_read2_b32 v[19:20], v30 offset1:176
	v_add_u32_e32 v81, 0x200, v30
	v_add_u32_e32 v82, 0x800, v30
	s_waitcnt lgkmcnt(0)
	v_lshrrev_b32_e32 v71, 16, v19
	v_lshrrev_b32_e32 v72, 16, v20
	s_waitcnt vmcnt(7)
	v_mul_f16_sdwa v83, v71, v73 dst_sel:DWORD dst_unused:UNUSED_PAD src0_sel:DWORD src1_sel:WORD_1
	v_mul_f16_sdwa v84, v19, v73 dst_sel:DWORD dst_unused:UNUSED_PAD src0_sel:DWORD src1_sel:WORD_1
	v_fma_f16 v19, v19, v73, -v83
	v_fma_f16 v71, v71, v73, v84
	v_pack_b32_f16 v19, v19, v71
	s_waitcnt vmcnt(6)
	v_mul_f16_sdwa v85, v72, v74 dst_sel:DWORD dst_unused:UNUSED_PAD src0_sel:DWORD src1_sel:WORD_1
	v_mul_f16_sdwa v86, v20, v74 dst_sel:DWORD dst_unused:UNUSED_PAD src0_sel:DWORD src1_sel:WORD_1
	v_fma_f16 v73, v20, v74, -v85
	ds_write_b32 v30, v19
	v_fma_f16 v71, v72, v74, v86
	ds_read2_b32 v[19:20], v18 offset0:64 offset1:240
	v_pack_b32_f16 v83, v73, v71
	ds_read2_b32 v[71:72], v17 offset0:32 offset1:208
	ds_read2_b32 v[73:74], v13 offset0:32 offset1:208
	s_waitcnt lgkmcnt(2)
	v_lshrrev_b32_e32 v84, 16, v19
	s_waitcnt vmcnt(5)
	v_mul_f16_sdwa v85, v19, v31 dst_sel:DWORD dst_unused:UNUSED_PAD src0_sel:DWORD src1_sel:WORD_1
	v_lshrrev_b32_e32 v86, 16, v20
	s_waitcnt vmcnt(2)
	v_mul_f16_sdwa v87, v20, v77 dst_sel:DWORD dst_unused:UNUSED_PAD src0_sel:DWORD src1_sel:WORD_1
	s_waitcnt lgkmcnt(1)
	v_lshrrev_b32_e32 v88, 16, v71
	s_waitcnt vmcnt(1)
	v_mul_f16_sdwa v89, v71, v78 dst_sel:DWORD dst_unused:UNUSED_PAD src0_sel:DWORD src1_sel:WORD_1
	s_waitcnt lgkmcnt(0)
	v_lshrrev_b32_e32 v90, 16, v73
	v_mul_f16_sdwa v91, v73, v75 dst_sel:DWORD dst_unused:UNUSED_PAD src0_sel:DWORD src1_sel:WORD_1
	v_lshrrev_b32_e32 v92, 16, v72
	s_waitcnt vmcnt(0)
	v_mul_f16_sdwa v93, v72, v80 dst_sel:DWORD dst_unused:UNUSED_PAD src0_sel:DWORD src1_sel:WORD_1
	v_lshrrev_b32_e32 v94, 16, v74
	v_mul_f16_sdwa v95, v74, v76 dst_sel:DWORD dst_unused:UNUSED_PAD src0_sel:DWORD src1_sel:WORD_1
	v_mul_f16_sdwa v96, v84, v31 dst_sel:DWORD dst_unused:UNUSED_PAD src0_sel:DWORD src1_sel:WORD_1
	v_fma_f16 v84, v84, v31, v85
	v_mul_f16_sdwa v85, v86, v77 dst_sel:DWORD dst_unused:UNUSED_PAD src0_sel:DWORD src1_sel:WORD_1
	v_fma_f16 v86, v86, v77, v87
	;; [unrolled: 2-line block ×6, first 2 shown]
	v_fma_f16 v19, v19, v31, -v96
	v_fma_f16 v20, v20, v77, -v85
	;; [unrolled: 1-line block ×6, first 2 shown]
	v_pack_b32_f16 v19, v19, v84
	v_pack_b32_f16 v20, v20, v86
	v_pack_b32_f16 v31, v31, v88
	v_pack_b32_f16 v71, v71, v90
	v_pack_b32_f16 v72, v72, v92
	v_pack_b32_f16 v73, v73, v94
	ds_write2_b32 v81, v83, v31 offset0:48 offset1:224
	ds_write2_b32 v79, v20, v71 offset0:48 offset1:224
	;; [unrolled: 1-line block ×3, first 2 shown]
	ds_write_b32 v30, v73 offset:4928
	s_waitcnt lgkmcnt(0)
	s_barrier
	ds_read2_b32 v[19:20], v30 offset1:176
	ds_read2_b32 v[71:72], v18 offset0:64 offset1:240
	ds_read2_b32 v[73:74], v17 offset0:32 offset1:208
	ds_read2_b32 v[75:76], v13 offset0:32 offset1:208
	s_waitcnt lgkmcnt(0)
	s_barrier
	v_pk_add_f16 v77, v19, v71 neg_lo:[0,1] neg_hi:[0,1]
	v_pk_add_f16 v72, v20, v72 neg_lo:[0,1] neg_hi:[0,1]
	;; [unrolled: 1-line block ×4, first 2 shown]
	v_pk_fma_f16 v76, v19, 2.0, v77 op_sel_hi:[1,0,1] neg_lo:[0,0,1] neg_hi:[0,0,1]
	v_pk_fma_f16 v71, v20, 2.0, v72 op_sel_hi:[1,0,1] neg_lo:[0,0,1] neg_hi:[0,0,1]
	;; [unrolled: 1-line block ×4, first 2 shown]
	ds_write_b64 v33, v[76:77]
	ds_write_b64 v16, v[71:72]
	;; [unrolled: 1-line block ×4, first 2 shown]
	s_waitcnt lgkmcnt(0)
	s_barrier
	ds_read2_b32 v[14:15], v30 offset1:176
	ds_read2_b32 v[19:20], v18 offset0:64 offset1:240
	ds_read2_b32 v[71:72], v17 offset0:32 offset1:208
	;; [unrolled: 1-line block ×3, first 2 shown]
	s_waitcnt lgkmcnt(0)
	v_lshrrev_b32_e32 v16, 16, v14
	v_lshrrev_b32_e32 v31, 16, v19
	v_mul_f16_sdwa v80, v32, v31 dst_sel:DWORD dst_unused:UNUSED_PAD src0_sel:WORD_1 src1_sel:DWORD
	v_lshrrev_b32_e32 v75, 16, v20
	v_fma_f16 v80, v32, v19, v80
	v_mul_f16_sdwa v19, v32, v19 dst_sel:DWORD dst_unused:UNUSED_PAD src0_sel:WORD_1 src1_sel:DWORD
	v_fma_f16 v19, v32, v31, -v19
	v_mul_f16_sdwa v31, v32, v75 dst_sel:DWORD dst_unused:UNUSED_PAD src0_sel:WORD_1 src1_sel:DWORD
	v_lshrrev_b32_e32 v77, 16, v73
	v_fma_f16 v31, v32, v20, v31
	v_mul_f16_sdwa v20, v32, v20 dst_sel:DWORD dst_unused:UNUSED_PAD src0_sel:WORD_1 src1_sel:DWORD
	v_fma_f16 v20, v32, v75, -v20
	;; [unrolled: 5-line block ×3, first 2 shown]
	v_mul_f16_sdwa v77, v32, v79 dst_sel:DWORD dst_unused:UNUSED_PAD src0_sel:WORD_1 src1_sel:DWORD
	v_fma_f16 v77, v32, v74, v77
	v_mul_f16_sdwa v74, v32, v74 dst_sel:DWORD dst_unused:UNUSED_PAD src0_sel:WORD_1 src1_sel:DWORD
	v_lshrrev_b32_e32 v33, 16, v15
	v_fma_f16 v32, v32, v79, -v74
	v_sub_f16_e32 v74, v14, v80
	v_sub_f16_e32 v19, v16, v19
	v_lshrrev_b32_e32 v76, 16, v71
	v_fma_f16 v14, v14, 2.0, -v74
	v_fma_f16 v16, v16, 2.0, -v19
	v_sub_f16_e32 v31, v15, v31
	v_sub_f16_e32 v20, v33, v20
	v_lshrrev_b32_e32 v78, 16, v72
	v_fma_f16 v15, v15, 2.0, -v31
	v_fma_f16 v33, v33, 2.0, -v20
	v_sub_f16_e32 v75, v71, v75
	v_sub_f16_e32 v73, v76, v73
	v_pack_b32_f16 v14, v14, v16
	v_pack_b32_f16 v16, v74, v19
	v_fma_f16 v71, v71, 2.0, -v75
	v_fma_f16 v76, v76, 2.0, -v73
	v_sub_f16_e32 v77, v72, v77
	v_sub_f16_e32 v32, v78, v32
	s_barrier
	ds_write2_b32 v34, v14, v16 offset1:2
	v_pack_b32_f16 v14, v15, v33
	v_pack_b32_f16 v15, v31, v20
	v_fma_f16 v72, v72, 2.0, -v77
	v_fma_f16 v78, v78, 2.0, -v32
	ds_write2_b32 v35, v14, v15 offset1:2
	v_pack_b32_f16 v14, v71, v76
	v_pack_b32_f16 v15, v75, v73
	ds_write2_b32 v37, v14, v15 offset1:2
	v_pack_b32_f16 v14, v72, v78
	v_pack_b32_f16 v15, v77, v32
	ds_write2_b32 v38, v14, v15 offset1:2
	s_waitcnt lgkmcnt(0)
	s_barrier
	ds_read2_b32 v[14:15], v30 offset1:176
	ds_read2_b32 v[19:20], v18 offset0:64 offset1:240
	ds_read2_b32 v[31:32], v17 offset0:32 offset1:208
	ds_read2_b32 v[33:34], v13 offset0:32 offset1:208
	s_waitcnt lgkmcnt(0)
	s_barrier
	v_lshrrev_b32_e32 v16, 16, v14
	v_lshrrev_b32_e32 v35, 16, v19
	v_mul_f16_sdwa v75, v36, v35 dst_sel:DWORD dst_unused:UNUSED_PAD src0_sel:WORD_1 src1_sel:DWORD
	v_lshrrev_b32_e32 v38, 16, v20
	v_fma_f16 v75, v36, v19, v75
	v_mul_f16_sdwa v19, v36, v19 dst_sel:DWORD dst_unused:UNUSED_PAD src0_sel:WORD_1 src1_sel:DWORD
	v_fma_f16 v19, v36, v35, -v19
	v_mul_f16_sdwa v35, v36, v38 dst_sel:DWORD dst_unused:UNUSED_PAD src0_sel:WORD_1 src1_sel:DWORD
	v_lshrrev_b32_e32 v72, 16, v33
	v_fma_f16 v35, v36, v20, v35
	v_mul_f16_sdwa v20, v36, v20 dst_sel:DWORD dst_unused:UNUSED_PAD src0_sel:WORD_1 src1_sel:DWORD
	v_fma_f16 v20, v36, v38, -v20
	v_mul_f16_sdwa v38, v36, v72 dst_sel:DWORD dst_unused:UNUSED_PAD src0_sel:WORD_1 src1_sel:DWORD
	v_lshrrev_b32_e32 v74, 16, v34
	v_fma_f16 v38, v36, v33, v38
	v_mul_f16_sdwa v33, v36, v33 dst_sel:DWORD dst_unused:UNUSED_PAD src0_sel:WORD_1 src1_sel:DWORD
	v_fma_f16 v33, v36, v72, -v33
	v_mul_f16_sdwa v72, v36, v74 dst_sel:DWORD dst_unused:UNUSED_PAD src0_sel:WORD_1 src1_sel:DWORD
	v_fma_f16 v72, v36, v34, v72
	v_mul_f16_sdwa v34, v36, v34 dst_sel:DWORD dst_unused:UNUSED_PAD src0_sel:WORD_1 src1_sel:DWORD
	v_lshrrev_b32_e32 v37, 16, v15
	v_fma_f16 v34, v36, v74, -v34
	v_sub_f16_e32 v36, v14, v75
	v_sub_f16_e32 v19, v16, v19
	v_lshrrev_b32_e32 v71, 16, v31
	v_fma_f16 v14, v14, 2.0, -v36
	v_fma_f16 v16, v16, 2.0, -v19
	v_sub_f16_e32 v35, v15, v35
	v_sub_f16_e32 v20, v37, v20
	v_lshrrev_b32_e32 v73, 16, v32
	v_fma_f16 v15, v15, 2.0, -v35
	v_fma_f16 v37, v37, 2.0, -v20
	v_sub_f16_e32 v38, v31, v38
	v_sub_f16_e32 v33, v71, v33
	v_pack_b32_f16 v14, v14, v16
	v_pack_b32_f16 v16, v36, v19
	v_fma_f16 v31, v31, 2.0, -v38
	v_fma_f16 v71, v71, 2.0, -v33
	v_sub_f16_e32 v72, v32, v72
	v_sub_f16_e32 v34, v73, v34
	ds_write2_b32 v39, v14, v16 offset1:4
	v_pack_b32_f16 v14, v15, v37
	v_pack_b32_f16 v15, v35, v20
	v_fma_f16 v32, v32, 2.0, -v72
	v_fma_f16 v73, v73, 2.0, -v34
	ds_write2_b32 v41, v14, v15 offset1:4
	v_pack_b32_f16 v14, v31, v71
	v_pack_b32_f16 v15, v38, v33
	ds_write2_b32 v43, v14, v15 offset1:4
	v_pack_b32_f16 v14, v32, v73
	v_pack_b32_f16 v15, v72, v34
	ds_write2_b32 v44, v14, v15 offset1:4
	s_waitcnt lgkmcnt(0)
	s_barrier
	ds_read2_b32 v[14:15], v30 offset1:176
	ds_read2_b32 v[19:20], v18 offset0:64 offset1:240
	ds_read2_b32 v[31:32], v17 offset0:32 offset1:208
	ds_read2_b32 v[33:34], v13 offset0:32 offset1:208
	s_waitcnt lgkmcnt(0)
	s_barrier
	v_lshrrev_b32_e32 v16, 16, v14
	v_lshrrev_b32_e32 v35, 16, v19
	v_mul_f16_sdwa v44, v42, v35 dst_sel:DWORD dst_unused:UNUSED_PAD src0_sel:WORD_1 src1_sel:DWORD
	v_lshrrev_b32_e32 v37, 16, v20
	v_fma_f16 v44, v42, v19, v44
	v_mul_f16_sdwa v19, v42, v19 dst_sel:DWORD dst_unused:UNUSED_PAD src0_sel:WORD_1 src1_sel:DWORD
	v_fma_f16 v19, v42, v35, -v19
	v_mul_f16_sdwa v35, v42, v37 dst_sel:DWORD dst_unused:UNUSED_PAD src0_sel:WORD_1 src1_sel:DWORD
	v_lshrrev_b32_e32 v39, 16, v33
	v_fma_f16 v35, v42, v20, v35
	v_mul_f16_sdwa v20, v42, v20 dst_sel:DWORD dst_unused:UNUSED_PAD src0_sel:WORD_1 src1_sel:DWORD
	v_fma_f16 v20, v42, v37, -v20
	v_mul_f16_sdwa v37, v42, v39 dst_sel:DWORD dst_unused:UNUSED_PAD src0_sel:WORD_1 src1_sel:DWORD
	v_lshrrev_b32_e32 v43, 16, v34
	v_fma_f16 v37, v42, v33, v37
	v_mul_f16_sdwa v33, v42, v33 dst_sel:DWORD dst_unused:UNUSED_PAD src0_sel:WORD_1 src1_sel:DWORD
	v_fma_f16 v33, v42, v39, -v33
	v_mul_f16_sdwa v39, v42, v43 dst_sel:DWORD dst_unused:UNUSED_PAD src0_sel:WORD_1 src1_sel:DWORD
	v_fma_f16 v39, v42, v34, v39
	v_mul_f16_sdwa v34, v42, v34 dst_sel:DWORD dst_unused:UNUSED_PAD src0_sel:WORD_1 src1_sel:DWORD
	v_lshrrev_b32_e32 v36, 16, v15
	v_fma_f16 v34, v42, v43, -v34
	v_sub_f16_e32 v42, v14, v44
	v_sub_f16_e32 v19, v16, v19
	v_lshrrev_b32_e32 v38, 16, v31
	v_fma_f16 v14, v14, 2.0, -v42
	v_fma_f16 v16, v16, 2.0, -v19
	v_sub_f16_e32 v35, v15, v35
	v_sub_f16_e32 v20, v36, v20
	v_lshrrev_b32_e32 v41, 16, v32
	v_fma_f16 v15, v15, 2.0, -v35
	v_fma_f16 v36, v36, 2.0, -v20
	v_sub_f16_e32 v37, v31, v37
	v_sub_f16_e32 v33, v38, v33
	v_pack_b32_f16 v14, v14, v16
	v_pack_b32_f16 v16, v42, v19
	v_fma_f16 v31, v31, 2.0, -v37
	v_fma_f16 v38, v38, 2.0, -v33
	v_sub_f16_e32 v39, v32, v39
	v_sub_f16_e32 v34, v41, v34
	;; [unrolled: 60-line block ×3, first 2 shown]
	ds_write2_b32 v51, v14, v16 offset1:16
	v_pack_b32_f16 v14, v15, v36
	v_pack_b32_f16 v15, v35, v20
	v_fma_f16 v32, v32, 2.0, -v39
	v_fma_f16 v41, v41, 2.0, -v34
	ds_write2_b32 v50, v14, v15 offset1:16
	v_pack_b32_f16 v14, v31, v38
	v_pack_b32_f16 v15, v37, v33
	ds_write2_b32 v52, v14, v15 offset1:16
	v_pack_b32_f16 v14, v32, v41
	v_pack_b32_f16 v15, v39, v34
	ds_write2_b32 v55, v14, v15 offset1:16
	s_waitcnt lgkmcnt(0)
	s_barrier
	ds_read2_b32 v[15:16], v30 offset1:176
	ds_read2_b32 v[18:19], v18 offset0:64 offset1:240
	ds_read2_b32 v[41:42], v17 offset0:32 offset1:208
	ds_read2_b32 v[13:14], v13 offset0:32 offset1:208
	s_waitcnt lgkmcnt(0)
	s_barrier
	v_lshrrev_b32_e32 v20, 16, v15
	v_lshrrev_b32_e32 v17, 16, v18
	v_mul_f16_sdwa v37, v53, v17 dst_sel:DWORD dst_unused:UNUSED_PAD src0_sel:WORD_1 src1_sel:DWORD
	v_lshrrev_b32_e32 v31, 16, v19
	v_fma_f16 v37, v53, v18, v37
	v_mul_f16_sdwa v18, v53, v18 dst_sel:DWORD dst_unused:UNUSED_PAD src0_sel:WORD_1 src1_sel:DWORD
	v_fma_f16 v17, v53, v17, -v18
	v_mul_f16_sdwa v18, v54, v31 dst_sel:DWORD dst_unused:UNUSED_PAD src0_sel:WORD_1 src1_sel:DWORD
	v_lshrrev_b32_e32 v34, 16, v13
	v_fma_f16 v18, v56, v19, v18
	v_mul_f16_sdwa v19, v54, v19 dst_sel:DWORD dst_unused:UNUSED_PAD src0_sel:WORD_1 src1_sel:DWORD
	v_fma_f16 v19, v56, v31, -v19
	;; [unrolled: 5-line block ×3, first 2 shown]
	v_mul_f16_e32 v13, v57, v36
	v_sub_f16_e32 v38, v20, v17
	v_lshrrev_b32_e32 v32, 16, v16
	v_fma_f16 v44, v54, v14, v13
	v_mul_f16_e32 v13, v57, v14
	v_sub_f16_e32 v14, v15, v37
	v_fma_f16 v31, v20, 2.0, -v38
	v_sub_f16_e32 v20, v16, v18
	v_lshrrev_b32_e32 v33, 16, v41
	v_fma_f16 v45, v54, v36, -v13
	v_fma_f16 v13, v15, 2.0, -v14
	v_sub_f16_e32 v34, v32, v19
	v_fma_f16 v19, v16, 2.0, -v20
	v_sub_f16_e32 v16, v41, v39
	v_lshrrev_b32_e32 v35, 16, v42
	v_fma_f16 v36, v32, 2.0, -v34
	v_sub_f16_e32 v32, v33, v43
	v_fma_f16 v15, v41, 2.0, -v16
	v_pack_b32_f16 v39, v13, v31
	v_pack_b32_f16 v41, v14, v38
	v_fma_f16 v33, v33, 2.0, -v32
	v_sub_f16_e32 v18, v42, v44
	v_sub_f16_e32 v37, v35, v45
	ds_write2_b32 v58, v39, v41 offset1:32
	v_pack_b32_f16 v39, v19, v36
	v_pack_b32_f16 v41, v20, v34
	v_fma_f16 v17, v42, 2.0, -v18
	v_fma_f16 v35, v35, 2.0, -v37
	ds_write2_b32 v59, v39, v41 offset1:32
	v_pack_b32_f16 v39, v15, v33
	v_pack_b32_f16 v41, v16, v32
	ds_write2_b32 v61, v39, v41 offset1:32
	v_pack_b32_f16 v39, v17, v35
	v_pack_b32_f16 v41, v18, v37
	ds_write2_b32 v62, v39, v41 offset1:32
	s_waitcnt lgkmcnt(0)
	s_barrier
	s_and_saveexec_b64 s[2:3], s[0:1]
	s_cbranch_execz .LBB0_7
; %bb.6:
	ds_read2st64_b32 v[13:14], v30 offset1:2
	ds_read2st64_b32 v[19:20], v30 offset0:4 offset1:6
	ds_read2st64_b32 v[15:16], v30 offset0:8 offset1:10
	;; [unrolled: 1-line block ×4, first 2 shown]
	ds_read_b32 v69, v30 offset:5120
	s_waitcnt lgkmcnt(5)
	v_lshrrev_b32_e32 v31, 16, v13
	v_lshrrev_b32_e32 v38, 16, v14
	s_waitcnt lgkmcnt(4)
	v_lshrrev_b32_e32 v36, 16, v19
	v_lshrrev_b32_e32 v34, 16, v20
	;; [unrolled: 3-line block ×5, first 2 shown]
	s_waitcnt lgkmcnt(0)
	v_lshrrev_b32_e32 v70, 16, v69
.LBB0_7:
	s_or_b64 exec, exec, s[2:3]
	s_barrier
	s_and_saveexec_b64 s[2:3], s[0:1]
	s_cbranch_execz .LBB0_9
; %bb.8:
	v_mul_f16_sdwa v39, v0, v38 dst_sel:DWORD dst_unused:UNUSED_PAD src0_sel:WORD_1 src1_sel:DWORD
	v_mul_f16_sdwa v41, v10, v70 dst_sel:DWORD dst_unused:UNUSED_PAD src0_sel:WORD_1 src1_sel:DWORD
	;; [unrolled: 1-line block ×4, first 2 shown]
	v_fma_f16 v39, v0, v14, v39
	v_fma_f16 v41, v10, v69, v41
	v_fma_f16 v10, v10, v70, -v44
	v_mul_f16_sdwa v14, v0, v14 dst_sel:DWORD dst_unused:UNUSED_PAD src0_sel:WORD_1 src1_sel:DWORD
	v_mul_f16_sdwa v44, v1, v36 dst_sel:DWORD dst_unused:UNUSED_PAD src0_sel:WORD_1 src1_sel:DWORD
	v_fma_f16 v45, v9, v12, v45
	v_mul_f16_sdwa v12, v9, v12 dst_sel:DWORD dst_unused:UNUSED_PAD src0_sel:WORD_1 src1_sel:DWORD
	v_sub_f16_e32 v42, v39, v41
	v_fma_f16 v0, v0, v38, -v14
	v_fma_f16 v44, v1, v19, v44
	v_fma_f16 v9, v9, v68, -v12
	v_mul_f16_sdwa v12, v1, v19 dst_sel:DWORD dst_unused:UNUSED_PAD src0_sel:WORD_1 src1_sel:DWORD
	v_mul_f16_e32 v43, 0xba0c, v42
	v_add_f16_e32 v14, v10, v0
	s_mov_b32 s0, 0xb93d
	v_sub_f16_e32 v46, v44, v45
	v_fma_f16 v1, v1, v36, -v12
	v_fma_f16 v38, v14, s0, v43
	v_mul_f16_e32 v47, 0x3beb, v46
	v_add_f16_e32 v12, v9, v1
	s_mov_b32 s6, 0xb08e
	v_add_f16_e32 v38, v31, v38
	v_fma_f16 v19, v12, s6, v47
	v_add_f16_e32 v19, v19, v38
	v_mul_f16_sdwa v38, v7, v67 dst_sel:DWORD dst_unused:UNUSED_PAD src0_sel:WORD_1 src1_sel:DWORD
	v_mul_f16_sdwa v36, v2, v34 dst_sel:DWORD dst_unused:UNUSED_PAD src0_sel:WORD_1 src1_sel:DWORD
	v_fma_f16 v38, v7, v11, v38
	v_mul_f16_sdwa v11, v7, v11 dst_sel:DWORD dst_unused:UNUSED_PAD src0_sel:WORD_1 src1_sel:DWORD
	v_fma_f16 v36, v2, v20, v36
	v_fma_f16 v7, v7, v67, -v11
	v_mul_f16_sdwa v11, v2, v20 dst_sel:DWORD dst_unused:UNUSED_PAD src0_sel:WORD_1 src1_sel:DWORD
	v_sub_f16_e32 v48, v36, v38
	v_fma_f16 v2, v2, v34, -v11
	v_mul_f16_e32 v49, 0xb853, v48
	v_add_f16_e32 v11, v7, v2
	s_movk_i32 s7, 0x3abb
	v_fma_f16 v20, v11, s7, v49
	v_add_f16_e32 v19, v20, v19
	v_mul_f16_sdwa v20, v3, v33 dst_sel:DWORD dst_unused:UNUSED_PAD src0_sel:WORD_1 src1_sel:DWORD
	v_mul_f16_sdwa v34, v6, v37 dst_sel:DWORD dst_unused:UNUSED_PAD src0_sel:WORD_1 src1_sel:DWORD
	v_fma_f16 v20, v3, v15, v20
	v_fma_f16 v34, v6, v18, v34
	v_mul_f16_sdwa v18, v6, v18 dst_sel:DWORD dst_unused:UNUSED_PAD src0_sel:WORD_1 src1_sel:DWORD
	v_mul_f16_sdwa v15, v3, v15 dst_sel:DWORD dst_unused:UNUSED_PAD src0_sel:WORD_1 src1_sel:DWORD
	v_sub_f16_e32 v50, v20, v34
	v_fma_f16 v6, v6, v37, -v18
	v_fma_f16 v3, v3, v33, -v15
	v_mul_f16_e32 v51, 0xb482, v50
	v_add_f16_e32 v15, v6, v3
	s_mov_b32 s14, 0xbbad
	v_fma_f16 v18, v15, s14, v51
	v_add_f16_e32 v18, v18, v19
	v_mul_f16_sdwa v19, v4, v32 dst_sel:DWORD dst_unused:UNUSED_PAD src0_sel:WORD_1 src1_sel:DWORD
	v_mul_f16_sdwa v33, v5, v35 dst_sel:DWORD dst_unused:UNUSED_PAD src0_sel:WORD_1 src1_sel:DWORD
	v_fma_f16 v19, v4, v16, v19
	v_fma_f16 v33, v5, v17, v33
	v_mul_f16_sdwa v17, v5, v17 dst_sel:DWORD dst_unused:UNUSED_PAD src0_sel:WORD_1 src1_sel:DWORD
	v_mul_f16_sdwa v16, v4, v16 dst_sel:DWORD dst_unused:UNUSED_PAD src0_sel:WORD_1 src1_sel:DWORD
	v_sub_f16_e32 v37, v19, v33
	v_fma_f16 v5, v5, v35, -v17
	v_fma_f16 v4, v4, v32, -v16
	v_mul_f16_e32 v52, 0x3b47, v37
	v_add_f16_e32 v16, v5, v4
	s_movk_i32 s16, 0x36a6
	v_fma_f16 v17, v16, s16, v52
	v_sub_f16_e32 v32, v0, v10
	v_add_f16_e32 v17, v17, v18
	v_add_f16_e32 v18, v41, v39
	v_mul_f16_e32 v35, 0xba0c, v32
	v_sub_f16_e32 v55, v1, v9
	v_fma_f16 v53, v18, s0, -v35
	v_add_f16_e32 v54, v45, v44
	v_mul_f16_e32 v56, 0x3beb, v55
	v_add_f16_e32 v53, v13, v53
	v_fma_f16 v57, v54, s6, -v56
	v_sub_f16_e32 v58, v2, v7
	v_add_f16_e32 v53, v57, v53
	v_add_f16_e32 v57, v38, v36
	v_mul_f16_e32 v59, 0xb853, v58
	v_fma_f16 v61, v57, s7, -v59
	v_sub_f16_e32 v62, v3, v6
	v_add_f16_e32 v53, v61, v53
	v_add_f16_e32 v61, v34, v20
	v_mul_f16_e32 v67, 0xb482, v62
	;; [unrolled: 5-line block ×3, first 2 shown]
	v_fma_f16 v71, v68, s16, -v70
	v_fma_f16 v43, v14, s0, -v43
	v_add_f16_e32 v53, v71, v53
	v_mul_f16_e32 v71, 0xb482, v42
	v_add_f16_e32 v43, v31, v43
	v_fma_f16 v47, v12, s6, -v47
	v_fma_f16 v72, v14, s14, v71
	v_mul_f16_e32 v73, 0x3853, v46
	v_add_f16_e32 v43, v47, v43
	v_fma_f16 v47, v11, s7, -v49
	v_add_f16_e32 v72, v31, v72
	v_fma_f16 v74, v12, s7, v73
	v_add_f16_e32 v43, v47, v43
	v_fma_f16 v47, v15, s14, -v51
	v_add_f16_e32 v72, v74, v72
	v_mul_f16_e32 v74, 0xba0c, v48
	v_add_f16_e32 v43, v47, v43
	v_fma_f16 v47, v16, s16, -v52
	v_fma_f16 v35, v18, s0, v35
	v_fma_f16 v75, v11, s0, v74
	v_add_f16_e32 v43, v47, v43
	v_add_f16_e32 v35, v13, v35
	v_fma_f16 v47, v54, s6, v56
	v_add_f16_e32 v72, v75, v72
	v_mul_f16_e32 v75, 0x3b47, v50
	v_add_f16_e32 v35, v47, v35
	v_fma_f16 v47, v57, s7, v59
	v_fma_f16 v76, v15, s16, v75
	v_add_f16_e32 v35, v47, v35
	v_fma_f16 v47, v61, s14, v67
	v_add_f16_e32 v72, v76, v72
	v_mul_f16_e32 v76, 0xbbeb, v37
	v_add_f16_e32 v35, v47, v35
	v_fma_f16 v47, v68, s16, v70
	s_movk_i32 s12, 0x3beb
	v_fma_f16 v77, v16, s6, v76
	v_fma_f16 v71, v14, s14, -v71
	v_add_f16_e32 v35, v47, v35
	v_mul_f16_e32 v47, 0xb08e, v14
	s_mov_b32 s15, 0xb482
	v_add_f16_e32 v72, v77, v72
	v_mul_f16_e32 v77, 0xb482, v32
	v_add_f16_e32 v71, v31, v71
	v_fma_f16 v73, v12, s7, -v73
	v_fma_f16 v49, v42, s12, v47
	v_mul_f16_e32 v51, 0xbbad, v12
	v_fma_f16 v78, v18, s14, -v77
	v_mul_f16_e32 v79, 0x3853, v55
	v_add_f16_e32 v71, v73, v71
	v_fma_f16 v73, v11, s0, -v74
	v_add_f16_e32 v49, v31, v49
	v_fma_f16 v52, v46, s15, v51
	v_add_f16_e32 v78, v13, v78
	v_fma_f16 v80, v54, s7, -v79
	v_add_f16_e32 v71, v73, v71
	v_fma_f16 v73, v15, s16, -v75
	v_add_f16_e32 v49, v52, v49
	v_mul_f16_e32 v52, 0x36a6, v11
	s_mov_b32 s20, 0xbb47
	v_add_f16_e32 v78, v80, v78
	v_mul_f16_e32 v80, 0xba0c, v58
	v_add_f16_e32 v71, v73, v71
	v_fma_f16 v73, v16, s6, -v76
	v_fma_f16 v56, v48, s20, v52
	s_movk_i32 s19, 0x3853
	v_fma_f16 v81, v57, s0, -v80
	v_add_f16_e32 v71, v73, v71
	v_fma_f16 v73, v18, s14, v77
	v_add_f16_e32 v49, v56, v49
	v_mul_f16_e32 v56, 0x3abb, v15
	v_add_f16_e32 v78, v81, v78
	v_mul_f16_e32 v81, 0x3b47, v62
	v_add_f16_e32 v73, v13, v73
	v_fma_f16 v74, v54, s7, v79
	v_fma_f16 v59, v50, s19, v56
	v_fma_f16 v82, v61, s16, -v81
	v_add_f16_e32 v73, v74, v73
	v_fma_f16 v74, v57, s0, v80
	v_add_f16_e32 v49, v59, v49
	v_mul_f16_e32 v59, 0xb93d, v16
	s_movk_i32 s21, 0x3a0c
	v_add_f16_e32 v78, v82, v78
	v_mul_f16_e32 v82, 0xbbeb, v69
	v_add_f16_e32 v73, v74, v73
	v_fma_f16 v74, v61, s16, v81
	v_fma_f16 v67, v37, s21, v59
	v_add_f16_e32 v73, v74, v73
	v_fma_f16 v74, v68, s6, v82
	v_add_f16_e32 v49, v67, v49
	v_mul_f16_e32 v67, 0xbbeb, v32
	v_add_f16_e32 v73, v74, v73
	v_fma_f16 v70, v18, s6, v67
	v_mul_f16_e32 v74, 0x3482, v55
	v_add_f16_e32 v70, v13, v70
	v_fma_f16 v75, v54, s14, v74
	v_add_f16_e32 v70, v75, v70
	v_mul_f16_e32 v75, 0x3b47, v58
	v_fma_f16 v76, v57, s16, v75
	v_add_f16_e32 v70, v76, v70
	v_mul_f16_e32 v76, 0xb853, v62
	s_mov_b32 s18, 0xbbeb
	v_fma_f16 v77, v61, s7, v76
	v_add_f16_e32 v0, v0, v31
	s_movk_i32 s22, 0x3482
	v_add_f16_e32 v70, v77, v70
	v_mul_f16_e32 v77, 0xba0c, v69
	v_add_f16_e32 v0, v1, v0
	v_fma_f16 v1, v42, s18, v47
	s_movk_i32 s17, 0x3b47
	v_fma_f16 v79, v68, s0, v77
	v_add_f16_e32 v0, v2, v0
	v_add_f16_e32 v1, v31, v1
	v_fma_f16 v2, v46, s22, v51
	s_mov_b32 s13, 0xb853
	v_add_f16_e32 v70, v79, v70
	v_mul_f16_e32 v79, 0x36a6, v14
	v_add_f16_e32 v1, v2, v1
	v_fma_f16 v2, v48, s17, v52
	s_mov_b32 s1, 0xba0c
	v_fma_f16 v80, v42, s17, v79
	v_mul_f16_e32 v81, 0xb93d, v12
	v_add_f16_e32 v1, v2, v1
	v_fma_f16 v2, v50, s13, v56
	v_fma_f16 v83, v68, s6, -v82
	v_add_f16_e32 v80, v31, v80
	v_fma_f16 v82, v46, s21, v81
	v_add_f16_e32 v1, v2, v1
	v_fma_f16 v2, v37, s1, v59
	v_add_f16_e32 v80, v82, v80
	v_mul_f16_e32 v82, 0xbbad, v11
	v_add_f16_e32 v1, v2, v1
	v_fma_f16 v2, v18, s6, -v67
	v_add_f16_e32 v78, v83, v78
	v_fma_f16 v83, v48, s15, v82
	v_add_f16_e32 v0, v3, v0
	v_add_f16_e32 v2, v13, v2
	v_fma_f16 v3, v54, s14, -v74
	v_add_f16_e32 v80, v83, v80
	v_mul_f16_e32 v83, 0xb08e, v15
	v_add_f16_e32 v2, v3, v2
	v_fma_f16 v3, v57, s16, -v75
	v_fma_f16 v84, v50, s18, v83
	v_add_f16_e32 v2, v3, v2
	v_fma_f16 v3, v61, s7, -v76
	v_add_f16_e32 v80, v84, v80
	v_mul_f16_e32 v84, 0x3abb, v16
	v_add_f16_e32 v2, v3, v2
	v_fma_f16 v3, v68, s0, -v77
	v_fma_f16 v85, v37, s13, v84
	v_add_f16_e32 v2, v3, v2
	v_fma_f16 v3, v42, s20, v79
	v_add_f16_e32 v80, v85, v80
	v_mul_f16_e32 v85, 0xbb47, v32
	v_add_f16_e32 v0, v4, v0
	v_add_f16_e32 v3, v31, v3
	v_fma_f16 v4, v46, s1, v81
	v_fma_f16 v86, v18, s16, v85
	v_mul_f16_e32 v87, 0xba0c, v55
	v_add_f16_e32 v3, v4, v3
	v_fma_f16 v4, v48, s22, v82
	v_add_f16_e32 v86, v13, v86
	v_fma_f16 v88, v54, s0, v87
	;; [unrolled: 2-line block ×3, first 2 shown]
	v_add_f16_e32 v86, v88, v86
	v_mul_f16_e32 v88, 0x3482, v58
	v_add_f16_e32 v3, v4, v3
	v_fma_f16 v4, v37, s19, v84
	v_fma_f16 v89, v57, s14, v88
	v_add_f16_e32 v3, v4, v3
	v_fma_f16 v4, v18, s16, -v85
	v_add_f16_e32 v86, v89, v86
	v_mul_f16_e32 v89, 0x3beb, v62
	v_add_f16_e32 v0, v5, v0
	v_add_f16_e32 v4, v13, v4
	v_fma_f16 v5, v54, s0, -v87
	v_fma_f16 v90, v61, s6, v89
	v_add_f16_e32 v4, v5, v4
	v_fma_f16 v5, v57, s14, -v88
	v_add_f16_e32 v86, v90, v86
	v_mul_f16_e32 v90, 0x3853, v69
	v_add_f16_e32 v4, v5, v4
	v_fma_f16 v5, v61, s6, -v89
	v_mul_f16_e32 v14, 0x3abb, v14
	v_add_f16_e32 v4, v5, v4
	v_fma_f16 v5, v68, s7, -v90
	v_fma_f16 v91, v68, s7, v90
	v_mul_f16_e32 v12, 0x36a6, v12
	v_add_f16_e32 v4, v5, v4
	v_fma_f16 v5, v42, s13, v14
	v_add_f16_e32 v86, v91, v86
	v_fma_f16 v91, v42, s19, v14
	v_mul_f16_e32 v11, 0xb08e, v11
	v_add_f16_e32 v0, v6, v0
	v_add_f16_e32 v5, v31, v5
	v_fma_f16 v6, v46, s20, v12
	v_add_f16_e32 v91, v31, v91
	v_fma_f16 v92, v46, s17, v12
	v_mul_f16_e32 v15, 0xb93d, v15
	v_add_f16_e32 v39, v13, v39
	;; [unrolled: 6-line block ×5, first 2 shown]
	v_add_f16_e32 v5, v6, v5
	v_fma_f16 v6, v18, s7, -v32
	v_add_f16_e32 v91, v92, v91
	v_fma_f16 v92, v18, s7, v32
	v_mul_f16_e32 v58, 0xbbeb, v58
	v_add_f16_e32 v19, v19, v20
	v_add_f16_e32 v0, v7, v0
	;; [unrolled: 1-line block ×3, first 2 shown]
	v_fma_f16 v7, v54, s16, -v55
	v_add_f16_e32 v92, v13, v92
	v_fma_f16 v93, v54, s16, v55
	v_mul_f16_e32 v62, 0xba0c, v62
	v_add_f16_e32 v19, v33, v19
	v_add_f16_e32 v6, v7, v6
	v_fma_f16 v7, v57, s6, -v58
	v_add_f16_e32 v92, v93, v92
	v_fma_f16 v93, v57, s6, v58
	v_mul_f16_e32 v69, 0xb482, v69
	v_add_f16_e32 v19, v34, v19
	v_add_f16_e32 v6, v7, v6
	v_fma_f16 v7, v61, s0, -v62
	v_add_f16_e32 v92, v93, v92
	v_fma_f16 v93, v61, s0, v62
	v_add_f16_e32 v19, v38, v19
	v_add_f16_e32 v6, v7, v6
	v_fma_f16 v7, v68, s14, -v69
	v_add_f16_e32 v92, v93, v92
	v_fma_f16 v93, v68, s14, v69
	v_add_f16_e32 v19, v45, v19
	v_add_f16_e32 v0, v9, v0
	;; [unrolled: 1-line block ×3, first 2 shown]
	v_mul_u32_u24_e32 v7, 0x2c0, v60
	v_add_f16_e32 v92, v93, v92
	v_add_f16_e32 v19, v41, v19
	;; [unrolled: 1-line block ×3, first 2 shown]
	v_or_b32_e32 v7, v7, v40
	v_lshlrev_b32_e32 v7, 2, v7
	v_pack_b32_f16 v0, v19, v0
	v_pack_b32_f16 v9, v92, v91
	ds_write2st64_b32 v7, v0, v9 offset1:1
	v_pack_b32_f16 v0, v86, v80
	v_pack_b32_f16 v9, v70, v49
	ds_write2st64_b32 v7, v0, v9 offset0:2 offset1:3
	v_pack_b32_f16 v0, v35, v43
	v_pack_b32_f16 v9, v73, v71
	ds_write2st64_b32 v7, v0, v9 offset0:4 offset1:5
	;; [unrolled: 3-line block ×4, first 2 shown]
	v_pack_b32_f16 v0, v6, v5
	ds_write_b32 v7, v0 offset:2560
.LBB0_9:
	s_or_b64 exec, exec, s[2:3]
	v_add_u32_e32 v13, 0xa00, v30
	s_waitcnt lgkmcnt(0)
	s_barrier
	ds_read2_b32 v[5:6], v13 offset0:64 offset1:240
	v_add_u32_e32 v1, 0x1000, v30
	ds_read2_b32 v[11:12], v1 offset0:32 offset1:208
	ds_read2_b32 v[3:4], v30 offset1:176
	v_add_u32_e32 v2, 0x500, v30
	s_waitcnt lgkmcnt(2)
	v_lshrrev_b32_e32 v7, 16, v5
	v_mul_f16_sdwa v20, v63, v7 dst_sel:DWORD dst_unused:UNUSED_PAD src0_sel:WORD_1 src1_sel:DWORD
	v_lshrrev_b32_e32 v15, 16, v6
	v_fma_f16 v20, v63, v5, v20
	v_mul_f16_sdwa v5, v63, v5 dst_sel:DWORD dst_unused:UNUSED_PAD src0_sel:WORD_1 src1_sel:DWORD
	v_fma_f16 v5, v63, v7, -v5
	v_mul_f16_sdwa v7, v64, v15 dst_sel:DWORD dst_unused:UNUSED_PAD src0_sel:WORD_1 src1_sel:DWORD
	s_waitcnt lgkmcnt(1)
	v_lshrrev_b32_e32 v17, 16, v11
	v_fma_f16 v7, v64, v6, v7
	v_mul_f16_sdwa v6, v64, v6 dst_sel:DWORD dst_unused:UNUSED_PAD src0_sel:WORD_1 src1_sel:DWORD
	v_fma_f16 v6, v64, v15, -v6
	v_mul_f16_sdwa v15, v65, v17 dst_sel:DWORD dst_unused:UNUSED_PAD src0_sel:WORD_1 src1_sel:DWORD
	ds_read2_b32 v[9:10], v2 offset0:32 offset1:208
	v_lshrrev_b32_e32 v19, 16, v12
	v_fma_f16 v15, v65, v11, v15
	v_mul_f16_sdwa v11, v65, v11 dst_sel:DWORD dst_unused:UNUSED_PAD src0_sel:WORD_1 src1_sel:DWORD
	v_fma_f16 v11, v65, v17, -v11
	v_mul_f16_sdwa v17, v66, v19 dst_sel:DWORD dst_unused:UNUSED_PAD src0_sel:WORD_1 src1_sel:DWORD
	s_waitcnt lgkmcnt(1)
	v_lshrrev_b32_e32 v0, 16, v3
	v_fma_f16 v17, v66, v12, v17
	v_mul_f16_sdwa v12, v66, v12 dst_sel:DWORD dst_unused:UNUSED_PAD src0_sel:WORD_1 src1_sel:DWORD
	v_lshrrev_b32_e32 v14, 16, v4
	v_fma_f16 v12, v66, v19, -v12
	v_sub_f16_e32 v19, v3, v20
	v_sub_f16_e32 v5, v0, v5
	v_fma_f16 v3, v3, 2.0, -v19
	v_fma_f16 v0, v0, 2.0, -v5
	v_sub_f16_e32 v7, v4, v7
	v_sub_f16_e32 v6, v14, v6
	s_waitcnt lgkmcnt(0)
	v_lshrrev_b32_e32 v16, 16, v9
	v_lshrrev_b32_e32 v18, 16, v10
	v_fma_f16 v4, v4, 2.0, -v7
	v_fma_f16 v14, v14, 2.0, -v6
	v_pack_b32_f16 v0, v3, v0
	v_pack_b32_f16 v3, v19, v5
	v_sub_f16_e32 v15, v9, v15
	v_sub_f16_e32 v11, v16, v11
	;; [unrolled: 1-line block ×4, first 2 shown]
	ds_write_b32 v30, v3 offset:2816
	v_pack_b32_f16 v3, v4, v14
	v_fma_f16 v9, v9, 2.0, -v15
	v_fma_f16 v16, v16, 2.0, -v11
	;; [unrolled: 1-line block ×4, first 2 shown]
	ds_write2_b32 v30, v0, v3 offset1:176
	v_pack_b32_f16 v0, v7, v6
	v_pack_b32_f16 v4, v15, v11
	v_add_u32_e32 v5, 0xd00, v30
	v_pack_b32_f16 v3, v9, v16
	ds_write2_b32 v5, v0, v4 offset0:48 offset1:224
	v_pack_b32_f16 v0, v10, v18
	ds_write2_b32 v2, v3, v0 offset0:32 offset1:208
	v_pack_b32_f16 v0, v17, v12
	ds_write_b32 v30, v0 offset:4928
	s_waitcnt lgkmcnt(0)
	s_barrier
	ds_read2_b32 v[3:4], v30 offset1:176
	s_mov_b32 s2, 0x745d1746
	s_mov_b32 s3, 0x3f4745d1
	v_mad_u64_u32 v[5:6], s[0:1], s10, v8, 0
	s_waitcnt lgkmcnt(0)
	v_lshrrev_b32_e32 v11, 16, v3
	v_mul_f16_sdwa v0, v29, v11 dst_sel:DWORD dst_unused:UNUSED_PAD src0_sel:WORD_1 src1_sel:DWORD
	v_fma_f16 v0, v29, v3, v0
	v_cvt_f32_f16_e32 v0, v0
	s_movk_i32 s6, 0x1ff
	s_movk_i32 s7, 0xffe
	v_mul_f16_sdwa v3, v29, v3 dst_sel:DWORD dst_unused:UNUSED_PAD src0_sel:WORD_1 src1_sel:DWORD
	v_cvt_f64_f32_e32 v[9:10], v0
	v_mov_b32_e32 v0, v6
	v_mad_u64_u32 v[6:7], s[0:1], s11, v8, v[0:1]
	v_mul_f64 v[9:10], v[9:10], s[2:3]
	v_fma_f16 v3, v29, v11, -v3
	v_cvt_f32_f16_e32 v3, v3
	s_movk_i32 s10, 0x40f
	s_mov_b32 s11, 0x8000
	v_lshlrev_b64 v[5:6], 2, v[5:6]
	v_and_or_b32 v0, v10, s6, v9
	v_cmp_ne_u32_e32 vcc, 0, v0
	v_cndmask_b32_e64 v0, 0, 1, vcc
	v_lshrrev_b32_e32 v7, 8, v10
	v_and_or_b32 v9, v7, s7, v0
	v_bfe_u32 v7, v10, 20, 11
	v_sub_u32_e32 v8, 0x3f1, v7
	v_or_b32_e32 v0, 0x1000, v9
	v_med3_i32 v8, v8, 0, 13
	v_lshrrev_b32_e32 v12, v8, v0
	v_lshlrev_b32_e32 v8, v8, v12
	v_cmp_ne_u32_e32 vcc, v8, v0
	v_cndmask_b32_e64 v0, 0, 1, vcc
	v_or_b32_e32 v0, v12, v0
	v_add_u32_e32 v12, 0xfffffc10, v7
	v_lshl_or_b32 v7, v12, 12, v9
	v_cmp_gt_i32_e32 vcc, 1, v12
	v_cndmask_b32_e32 v0, v7, v0, vcc
	v_and_b32_e32 v7, 7, v0
	v_cmp_lt_i32_e32 vcc, 5, v7
	v_cmp_eq_u32_e64 s[0:1], 3, v7
	v_cvt_f64_f32_e32 v[7:8], v3
	v_lshrrev_b32_e32 v0, 2, v0
	s_or_b64 vcc, s[0:1], vcc
	v_addc_co_u32_e32 v11, vcc, 0, v0, vcc
	v_mul_f64 v[7:8], v[7:8], s[2:3]
	v_mov_b32_e32 v0, 0x7c00
	v_cmp_gt_i32_e32 vcc, 31, v12
	v_cndmask_b32_e32 v3, v0, v11, vcc
	v_cmp_ne_u32_e32 vcc, 0, v9
	v_cndmask_b32_e64 v9, 0, 1, vcc
	v_lshl_or_b32 v9, v9, 9, v0
	v_cmp_eq_u32_e32 vcc, s10, v12
	v_cndmask_b32_e32 v3, v3, v9, vcc
	v_lshrrev_b32_e32 v9, 16, v10
	v_and_or_b32 v14, v9, s11, v3
	v_and_or_b32 v3, v8, s6, v7
	v_cmp_ne_u32_e32 vcc, 0, v3
	v_cndmask_b32_e64 v3, 0, 1, vcc
	v_lshrrev_b32_e32 v7, 8, v8
	v_bfe_u32 v9, v8, 20, 11
	v_and_or_b32 v3, v7, s7, v3
	v_sub_u32_e32 v10, 0x3f1, v9
	v_or_b32_e32 v7, 0x1000, v3
	v_med3_i32 v10, v10, 0, 13
	v_lshrrev_b32_e32 v11, v10, v7
	v_lshlrev_b32_e32 v10, v10, v11
	v_cmp_ne_u32_e32 vcc, v10, v7
	v_cndmask_b32_e64 v7, 0, 1, vcc
	v_or_b32_e32 v7, v11, v7
	v_add_u32_e32 v11, 0xfffffc10, v9
	v_lshl_or_b32 v9, v11, 12, v3
	v_cmp_gt_i32_e32 vcc, 1, v11
	v_cndmask_b32_e32 v7, v9, v7, vcc
	v_and_b32_e32 v9, 7, v7
	v_cmp_lt_i32_e32 vcc, 5, v9
	v_cmp_eq_u32_e64 s[0:1], 3, v9
	v_lshrrev_b32_e32 v7, 2, v7
	s_or_b64 vcc, s[0:1], vcc
	v_addc_co_u32_e32 v7, vcc, 0, v7, vcc
	v_cmp_gt_i32_e32 vcc, 31, v11
	v_cndmask_b32_e32 v7, v0, v7, vcc
	v_cmp_ne_u32_e32 vcc, 0, v3
	v_cndmask_b32_e64 v3, 0, 1, vcc
	v_mad_u64_u32 v[9:10], s[0:1], s8, v28, 0
	v_cmp_eq_u32_e32 vcc, s10, v11
	ds_read2_b32 v[11:12], v13 offset0:64 offset1:240
	v_lshl_or_b32 v3, v3, 9, v0
	v_cndmask_b32_e32 v15, v7, v3, vcc
	v_mov_b32_e32 v3, v10
	v_lshrrev_b32_e32 v13, 16, v8
	v_mad_u64_u32 v[7:8], s[0:1], s9, v28, v[3:4]
	s_waitcnt lgkmcnt(0)
	v_lshrrev_b32_e32 v3, 16, v11
	v_mul_f16_sdwa v8, v27, v3 dst_sel:DWORD dst_unused:UNUSED_PAD src0_sel:WORD_1 src1_sel:DWORD
	v_fma_f16 v8, v27, v11, v8
	v_cvt_f32_f16_e32 v8, v8
	v_mov_b32_e32 v10, v7
	v_and_or_b32 v13, v13, s11, v15
	v_and_b32_e32 v14, 0xffff, v14
	v_cvt_f64_f32_e32 v[7:8], v8
	v_lshl_or_b32 v13, v13, 16, v14
	v_mov_b32_e32 v14, s5
	v_add_co_u32_e32 v15, vcc, s4, v5
	v_mul_f64 v[7:8], v[7:8], s[2:3]
	v_addc_co_u32_e32 v14, vcc, v14, v6, vcc
	v_lshlrev_b64 v[5:6], 2, v[9:10]
	v_mul_f16_sdwa v11, v27, v11 dst_sel:DWORD dst_unused:UNUSED_PAD src0_sel:WORD_1 src1_sel:DWORD
	v_add_co_u32_e32 v5, vcc, v15, v5
	v_addc_co_u32_e32 v6, vcc, v14, v6, vcc
	v_and_or_b32 v7, v8, s6, v7
	v_cmp_ne_u32_e32 vcc, 0, v7
	v_cndmask_b32_e64 v7, 0, 1, vcc
	v_lshrrev_b32_e32 v9, 8, v8
	v_bfe_u32 v10, v8, 20, 11
	global_store_dword v[5:6], v13, off
	v_and_or_b32 v7, v9, s7, v7
	v_sub_u32_e32 v13, 0x3f1, v10
	v_or_b32_e32 v9, 0x1000, v7
	v_med3_i32 v13, v13, 0, 13
	v_lshrrev_b32_e32 v14, v13, v9
	v_lshlrev_b32_e32 v13, v13, v14
	v_cmp_ne_u32_e32 vcc, v13, v9
	v_fma_f16 v3, v27, v3, -v11
	v_cndmask_b32_e64 v9, 0, 1, vcc
	v_add_u32_e32 v13, 0xfffffc10, v10
	v_cvt_f32_f16_e32 v3, v3
	v_or_b32_e32 v9, v14, v9
	v_lshl_or_b32 v10, v13, 12, v7
	v_cmp_gt_i32_e32 vcc, 1, v13
	v_cndmask_b32_e32 v9, v10, v9, vcc
	v_and_b32_e32 v10, 7, v9
	v_cmp_lt_i32_e32 vcc, 5, v10
	v_cmp_eq_u32_e64 s[0:1], 3, v10
	v_lshrrev_b32_e32 v11, 2, v9
	v_cvt_f64_f32_e32 v[9:10], v3
	s_or_b64 vcc, s[0:1], vcc
	v_addc_co_u32_e32 v3, vcc, 0, v11, vcc
	v_mul_f64 v[9:10], v[9:10], s[2:3]
	v_cmp_gt_i32_e32 vcc, 31, v13
	v_cndmask_b32_e32 v3, v0, v3, vcc
	v_cmp_ne_u32_e32 vcc, 0, v7
	v_cndmask_b32_e64 v7, 0, 1, vcc
	v_lshl_or_b32 v7, v7, 9, v0
	v_cmp_eq_u32_e32 vcc, s10, v13
	v_cndmask_b32_e32 v3, v3, v7, vcc
	v_lshrrev_b32_e32 v7, 16, v8
	v_and_or_b32 v3, v7, s11, v3
	v_and_or_b32 v7, v10, s6, v9
	v_cmp_ne_u32_e32 vcc, 0, v7
	v_cndmask_b32_e64 v7, 0, 1, vcc
	v_lshrrev_b32_e32 v8, 8, v10
	v_bfe_u32 v9, v10, 20, 11
	v_and_or_b32 v7, v8, s7, v7
	v_sub_u32_e32 v11, 0x3f1, v9
	v_or_b32_e32 v8, 0x1000, v7
	v_med3_i32 v11, v11, 0, 13
	v_lshrrev_b32_e32 v13, v11, v8
	v_lshlrev_b32_e32 v11, v11, v13
	v_cmp_ne_u32_e32 vcc, v11, v8
	v_cndmask_b32_e64 v8, 0, 1, vcc
	v_add_u32_e32 v9, 0xfffffc10, v9
	v_or_b32_e32 v8, v13, v8
	v_lshl_or_b32 v11, v9, 12, v7
	v_cmp_gt_i32_e32 vcc, 1, v9
	v_cndmask_b32_e32 v8, v11, v8, vcc
	v_and_b32_e32 v11, 7, v8
	v_cmp_lt_i32_e32 vcc, 5, v11
	v_cmp_eq_u32_e64 s[0:1], 3, v11
	v_lshrrev_b32_e32 v8, 2, v8
	s_or_b64 vcc, s[0:1], vcc
	v_addc_co_u32_e32 v8, vcc, 0, v8, vcc
	v_cmp_gt_i32_e32 vcc, 31, v9
	v_cndmask_b32_e32 v8, v0, v8, vcc
	v_cmp_ne_u32_e32 vcc, 0, v7
	v_cndmask_b32_e64 v7, 0, 1, vcc
	v_lshl_or_b32 v7, v7, 9, v0
	v_cmp_eq_u32_e32 vcc, s10, v9
	v_lshrrev_b32_e32 v9, 16, v4
	v_cndmask_b32_e32 v7, v8, v7, vcc
	v_lshrrev_b32_e32 v8, 16, v10
	v_mul_f16_sdwa v10, v26, v9 dst_sel:DWORD dst_unused:UNUSED_PAD src0_sel:WORD_1 src1_sel:DWORD
	v_fma_f16 v10, v26, v4, v10
	v_cvt_f32_f16_e32 v10, v10
	v_and_or_b32 v7, v8, s11, v7
	v_and_b32_e32 v3, 0xffff, v3
	v_lshl_or_b32 v3, v7, 16, v3
	v_cvt_f64_f32_e32 v[7:8], v10
	s_mul_i32 s0, s9, 0xb00
	s_mul_hi_u32 s4, s8, 0xb00
	s_add_i32 s4, s4, s0
	v_mul_f64 v[7:8], v[7:8], s[2:3]
	s_mul_i32 s5, s8, 0xb00
	v_mov_b32_e32 v10, s4
	v_add_co_u32_e32 v5, vcc, s5, v5
	v_addc_co_u32_e32 v6, vcc, v6, v10, vcc
	global_store_dword v[5:6], v3, off
	v_and_or_b32 v3, v8, s6, v7
	v_cmp_ne_u32_e32 vcc, 0, v3
	v_cndmask_b32_e64 v3, 0, 1, vcc
	v_lshrrev_b32_e32 v7, 8, v8
	v_bfe_u32 v10, v8, 20, 11
	v_and_or_b32 v7, v7, s7, v3
	v_sub_u32_e32 v11, 0x3f1, v10
	v_or_b32_e32 v3, 0x1000, v7
	v_med3_i32 v11, v11, 0, 13
	v_lshrrev_b32_e32 v13, v11, v3
	v_mul_f16_sdwa v4, v26, v4 dst_sel:DWORD dst_unused:UNUSED_PAD src0_sel:WORD_1 src1_sel:DWORD
	v_lshlrev_b32_e32 v11, v11, v13
	v_fma_f16 v4, v26, v9, -v4
	v_cmp_ne_u32_e32 vcc, v11, v3
	v_cvt_f32_f16_e32 v4, v4
	v_cndmask_b32_e64 v3, 0, 1, vcc
	v_add_u32_e32 v10, 0xfffffc10, v10
	v_or_b32_e32 v3, v13, v3
	v_lshl_or_b32 v11, v10, 12, v7
	v_cmp_gt_i32_e32 vcc, 1, v10
	v_cndmask_b32_e32 v3, v11, v3, vcc
	v_and_b32_e32 v11, 7, v3
	v_lshrrev_b32_e32 v9, 2, v3
	v_cvt_f64_f32_e32 v[3:4], v4
	v_cmp_lt_i32_e32 vcc, 5, v11
	v_cmp_eq_u32_e64 s[0:1], 3, v11
	s_or_b64 vcc, s[0:1], vcc
	v_mul_f64 v[3:4], v[3:4], s[2:3]
	v_addc_co_u32_e32 v9, vcc, 0, v9, vcc
	v_cmp_gt_i32_e32 vcc, 31, v10
	v_cndmask_b32_e32 v9, v0, v9, vcc
	v_cmp_ne_u32_e32 vcc, 0, v7
	v_cndmask_b32_e64 v7, 0, 1, vcc
	v_lshl_or_b32 v7, v7, 9, v0
	v_cmp_eq_u32_e32 vcc, s10, v10
	v_and_or_b32 v3, v4, s6, v3
	v_cndmask_b32_e32 v7, v9, v7, vcc
	v_lshrrev_b32_e32 v8, 16, v8
	v_cmp_ne_u32_e32 vcc, 0, v3
	v_and_or_b32 v7, v8, s11, v7
	v_cndmask_b32_e64 v3, 0, 1, vcc
	v_lshrrev_b32_e32 v8, 8, v4
	v_bfe_u32 v9, v4, 20, 11
	v_and_or_b32 v3, v8, s7, v3
	v_sub_u32_e32 v10, 0x3f1, v9
	v_or_b32_e32 v8, 0x1000, v3
	v_med3_i32 v10, v10, 0, 13
	v_lshrrev_b32_e32 v11, v10, v8
	v_lshlrev_b32_e32 v10, v10, v11
	v_cmp_ne_u32_e32 vcc, v10, v8
	v_cndmask_b32_e64 v8, 0, 1, vcc
	v_add_u32_e32 v9, 0xfffffc10, v9
	v_or_b32_e32 v8, v11, v8
	v_lshl_or_b32 v10, v9, 12, v3
	v_cmp_gt_i32_e32 vcc, 1, v9
	v_cndmask_b32_e32 v8, v10, v8, vcc
	v_and_b32_e32 v10, 7, v8
	v_cmp_lt_i32_e32 vcc, 5, v10
	v_cmp_eq_u32_e64 s[0:1], 3, v10
	v_lshrrev_b32_e32 v8, 2, v8
	s_or_b64 vcc, s[0:1], vcc
	v_addc_co_u32_e32 v8, vcc, 0, v8, vcc
	v_cmp_gt_i32_e32 vcc, 31, v9
	v_cndmask_b32_e32 v8, v0, v8, vcc
	v_cmp_ne_u32_e32 vcc, 0, v3
	v_cndmask_b32_e64 v3, 0, 1, vcc
	v_lshl_or_b32 v3, v3, 9, v0
	v_cmp_eq_u32_e32 vcc, s10, v9
	v_cndmask_b32_e32 v3, v8, v3, vcc
	v_lshrrev_b32_e32 v4, 16, v4
	v_lshrrev_b32_e32 v8, 16, v12
	v_and_or_b32 v3, v4, s11, v3
	v_mul_f16_sdwa v4, v25, v8 dst_sel:DWORD dst_unused:UNUSED_PAD src0_sel:WORD_1 src1_sel:DWORD
	v_fma_f16 v4, v25, v12, v4
	v_cvt_f32_f16_e32 v4, v4
	v_and_b32_e32 v7, 0xffff, v7
	v_lshl_or_b32 v7, v3, 16, v7
	s_mul_hi_u32 s1, s8, 0xfffff7c0
	v_cvt_f64_f32_e32 v[3:4], v4
	s_mul_i32 s0, s9, 0xfffff7c0
	s_sub_i32 s9, s1, s8
	s_add_i32 s9, s9, s0
	v_mul_f64 v[3:4], v[3:4], s[2:3]
	s_mulk_i32 s8, 0xf7c0
	v_mov_b32_e32 v9, s9
	v_add_co_u32_e32 v5, vcc, s8, v5
	v_addc_co_u32_e32 v6, vcc, v6, v9, vcc
	global_store_dword v[5:6], v7, off
	v_and_or_b32 v3, v4, s6, v3
	v_cmp_ne_u32_e32 vcc, 0, v3
	v_cndmask_b32_e64 v3, 0, 1, vcc
	v_lshrrev_b32_e32 v7, 8, v4
	v_bfe_u32 v9, v4, 20, 11
	v_and_or_b32 v3, v7, s7, v3
	v_sub_u32_e32 v10, 0x3f1, v9
	v_or_b32_e32 v7, 0x1000, v3
	v_med3_i32 v10, v10, 0, 13
	v_lshrrev_b32_e32 v11, v10, v7
	v_lshlrev_b32_e32 v10, v10, v11
	v_cmp_ne_u32_e32 vcc, v10, v7
	v_cndmask_b32_e64 v7, 0, 1, vcc
	v_or_b32_e32 v7, v11, v7
	v_mul_f16_sdwa v11, v25, v12 dst_sel:DWORD dst_unused:UNUSED_PAD src0_sel:WORD_1 src1_sel:DWORD
	v_fma_f16 v8, v25, v8, -v11
	v_add_u32_e32 v9, 0xfffffc10, v9
	v_cvt_f32_f16_e32 v8, v8
	v_lshl_or_b32 v10, v9, 12, v3
	v_cmp_gt_i32_e32 vcc, 1, v9
	v_cndmask_b32_e32 v7, v10, v7, vcc
	v_and_b32_e32 v10, 7, v7
	v_cmp_lt_i32_e32 vcc, 5, v10
	v_cmp_eq_u32_e64 s[0:1], 3, v10
	v_lshrrev_b32_e32 v10, 2, v7
	v_cvt_f64_f32_e32 v[7:8], v8
	s_or_b64 vcc, s[0:1], vcc
	v_addc_co_u32_e32 v10, vcc, 0, v10, vcc
	v_mul_f64 v[7:8], v[7:8], s[2:3]
	v_cmp_gt_i32_e32 vcc, 31, v9
	v_cndmask_b32_e32 v10, v0, v10, vcc
	v_cmp_ne_u32_e32 vcc, 0, v3
	v_cndmask_b32_e64 v3, 0, 1, vcc
	v_lshl_or_b32 v3, v3, 9, v0
	v_cmp_eq_u32_e32 vcc, s10, v9
	v_cndmask_b32_e32 v3, v10, v3, vcc
	v_lshrrev_b32_e32 v4, 16, v4
	v_and_or_b32 v4, v4, s11, v3
	v_and_or_b32 v3, v8, s6, v7
	v_cmp_ne_u32_e32 vcc, 0, v3
	v_cndmask_b32_e64 v3, 0, 1, vcc
	v_lshrrev_b32_e32 v7, 8, v8
	v_bfe_u32 v9, v8, 20, 11
	v_and_or_b32 v7, v7, s7, v3
	v_sub_u32_e32 v10, 0x3f1, v9
	v_or_b32_e32 v3, 0x1000, v7
	v_med3_i32 v10, v10, 0, 13
	v_lshrrev_b32_e32 v11, v10, v3
	v_lshlrev_b32_e32 v10, v10, v11
	v_cmp_ne_u32_e32 vcc, v10, v3
	v_cndmask_b32_e64 v3, 0, 1, vcc
	v_add_u32_e32 v9, 0xfffffc10, v9
	v_or_b32_e32 v3, v11, v3
	v_lshl_or_b32 v10, v9, 12, v7
	v_cmp_gt_i32_e32 vcc, 1, v9
	v_cndmask_b32_e32 v3, v10, v3, vcc
	v_and_b32_e32 v10, 7, v3
	v_cmp_lt_i32_e32 vcc, 5, v10
	v_cmp_eq_u32_e64 s[0:1], 3, v10
	v_lshrrev_b32_e32 v3, 2, v3
	s_or_b64 vcc, s[0:1], vcc
	v_addc_co_u32_e32 v10, vcc, 0, v3, vcc
	ds_read2_b32 v[2:3], v2 offset0:32 offset1:208
	v_cmp_gt_i32_e32 vcc, 31, v9
	v_cndmask_b32_e32 v10, v0, v10, vcc
	v_cmp_ne_u32_e32 vcc, 0, v7
	v_cndmask_b32_e64 v7, 0, 1, vcc
	s_waitcnt lgkmcnt(0)
	v_lshrrev_b32_e32 v11, 16, v2
	v_mul_f16_sdwa v12, v24, v11 dst_sel:DWORD dst_unused:UNUSED_PAD src0_sel:WORD_1 src1_sel:DWORD
	v_fma_f16 v12, v24, v2, v12
	v_cvt_f32_f16_e32 v12, v12
	v_lshl_or_b32 v7, v7, 9, v0
	v_cmp_eq_u32_e32 vcc, s10, v9
	v_cndmask_b32_e32 v7, v10, v7, vcc
	v_cvt_f64_f32_e32 v[9:10], v12
	v_lshrrev_b32_e32 v8, 16, v8
	v_and_or_b32 v12, v8, s11, v7
	v_and_b32_e32 v4, 0xffff, v4
	v_mul_f64 v[7:8], v[9:10], s[2:3]
	v_lshl_or_b32 v9, v12, 16, v4
	v_mov_b32_e32 v10, s4
	v_add_co_u32_e32 v4, vcc, s5, v5
	v_addc_co_u32_e32 v5, vcc, v6, v10, vcc
	global_store_dword v[4:5], v9, off
	v_and_or_b32 v6, v8, s6, v7
	v_cmp_ne_u32_e32 vcc, 0, v6
	v_cndmask_b32_e64 v6, 0, 1, vcc
	v_lshrrev_b32_e32 v7, 8, v8
	v_and_or_b32 v9, v7, s7, v6
	v_bfe_u32 v7, v8, 20, 11
	v_sub_u32_e32 v10, 0x3f1, v7
	v_or_b32_e32 v6, 0x1000, v9
	v_med3_i32 v10, v10, 0, 13
	v_lshrrev_b32_e32 v12, v10, v6
	v_lshlrev_b32_e32 v10, v10, v12
	v_mul_f16_sdwa v2, v24, v2 dst_sel:DWORD dst_unused:UNUSED_PAD src0_sel:WORD_1 src1_sel:DWORD
	v_cmp_ne_u32_e32 vcc, v10, v6
	v_fma_f16 v2, v24, v11, -v2
	v_cndmask_b32_e64 v6, 0, 1, vcc
	v_add_u32_e32 v10, 0xfffffc10, v7
	v_cvt_f32_f16_e32 v2, v2
	v_or_b32_e32 v6, v12, v6
	v_lshl_or_b32 v7, v10, 12, v9
	v_cmp_gt_i32_e32 vcc, 1, v10
	v_cndmask_b32_e32 v6, v7, v6, vcc
	v_and_b32_e32 v7, 7, v6
	v_cmp_lt_i32_e32 vcc, 5, v7
	v_cmp_eq_u32_e64 s[0:1], 3, v7
	v_lshrrev_b32_e32 v11, 2, v6
	v_cvt_f64_f32_e32 v[6:7], v2
	s_or_b64 vcc, s[0:1], vcc
	v_addc_co_u32_e32 v2, vcc, 0, v11, vcc
	v_mul_f64 v[6:7], v[6:7], s[2:3]
	v_cmp_gt_i32_e32 vcc, 31, v10
	v_cndmask_b32_e32 v2, v0, v2, vcc
	v_cmp_ne_u32_e32 vcc, 0, v9
	v_cndmask_b32_e64 v9, 0, 1, vcc
	v_lshl_or_b32 v9, v9, 9, v0
	v_cmp_eq_u32_e32 vcc, s10, v10
	v_cndmask_b32_e32 v2, v2, v9, vcc
	v_lshrrev_b32_e32 v8, 16, v8
	v_and_or_b32 v10, v8, s11, v2
	v_and_or_b32 v2, v7, s6, v6
	v_cmp_ne_u32_e32 vcc, 0, v2
	v_cndmask_b32_e64 v2, 0, 1, vcc
	v_lshrrev_b32_e32 v6, 8, v7
	v_bfe_u32 v8, v7, 20, 11
	v_and_or_b32 v6, v6, s7, v2
	v_sub_u32_e32 v9, 0x3f1, v8
	v_or_b32_e32 v2, 0x1000, v6
	v_med3_i32 v9, v9, 0, 13
	v_lshrrev_b32_e32 v11, v9, v2
	v_lshlrev_b32_e32 v9, v9, v11
	v_cmp_ne_u32_e32 vcc, v9, v2
	v_cndmask_b32_e64 v2, 0, 1, vcc
	v_add_u32_e32 v8, 0xfffffc10, v8
	v_or_b32_e32 v2, v11, v2
	v_lshl_or_b32 v9, v8, 12, v6
	v_cmp_gt_i32_e32 vcc, 1, v8
	v_cndmask_b32_e32 v2, v9, v2, vcc
	v_and_b32_e32 v9, 7, v2
	v_cmp_lt_i32_e32 vcc, 5, v9
	v_cmp_eq_u32_e64 s[0:1], 3, v9
	v_lshrrev_b32_e32 v2, 2, v2
	s_or_b64 vcc, s[0:1], vcc
	v_addc_co_u32_e32 v9, vcc, 0, v2, vcc
	ds_read2_b32 v[1:2], v1 offset0:32 offset1:208
	v_cmp_gt_i32_e32 vcc, 31, v8
	v_cndmask_b32_e32 v9, v0, v9, vcc
	v_cmp_ne_u32_e32 vcc, 0, v6
	v_cndmask_b32_e64 v6, 0, 1, vcc
	s_waitcnt lgkmcnt(0)
	v_lshrrev_b32_e32 v11, 16, v1
	v_mul_f16_sdwa v12, v23, v11 dst_sel:DWORD dst_unused:UNUSED_PAD src0_sel:WORD_1 src1_sel:DWORD
	v_fma_f16 v12, v23, v1, v12
	v_cvt_f32_f16_e32 v12, v12
	v_lshl_or_b32 v6, v6, 9, v0
	v_cmp_eq_u32_e32 vcc, s10, v8
	v_cndmask_b32_e32 v6, v9, v6, vcc
	v_cvt_f64_f32_e32 v[8:9], v12
	v_lshrrev_b32_e32 v7, 16, v7
	v_and_or_b32 v12, v7, s11, v6
	v_add_co_u32_e32 v4, vcc, s8, v4
	v_mul_f64 v[6:7], v[8:9], s[2:3]
	v_mov_b32_e32 v9, s9
	v_and_b32_e32 v10, 0xffff, v10
	v_addc_co_u32_e32 v5, vcc, v5, v9, vcc
	v_lshl_or_b32 v8, v12, 16, v10
	global_store_dword v[4:5], v8, off
	v_mul_f16_sdwa v1, v23, v1 dst_sel:DWORD dst_unused:UNUSED_PAD src0_sel:WORD_1 src1_sel:DWORD
	v_and_or_b32 v6, v7, s6, v6
	v_cmp_ne_u32_e32 vcc, 0, v6
	v_cndmask_b32_e64 v6, 0, 1, vcc
	v_lshrrev_b32_e32 v8, 8, v7
	v_bfe_u32 v9, v7, 20, 11
	v_and_or_b32 v6, v8, s7, v6
	v_sub_u32_e32 v10, 0x3f1, v9
	v_or_b32_e32 v8, 0x1000, v6
	v_med3_i32 v10, v10, 0, 13
	v_lshrrev_b32_e32 v12, v10, v8
	v_lshlrev_b32_e32 v10, v10, v12
	v_cmp_ne_u32_e32 vcc, v10, v8
	v_fma_f16 v1, v23, v11, -v1
	v_cndmask_b32_e64 v8, 0, 1, vcc
	v_add_u32_e32 v10, 0xfffffc10, v9
	v_cvt_f32_f16_e32 v1, v1
	v_or_b32_e32 v8, v12, v8
	v_lshl_or_b32 v9, v10, 12, v6
	v_cmp_gt_i32_e32 vcc, 1, v10
	v_cndmask_b32_e32 v8, v9, v8, vcc
	v_and_b32_e32 v9, 7, v8
	v_cmp_lt_i32_e32 vcc, 5, v9
	v_cmp_eq_u32_e64 s[0:1], 3, v9
	v_lshrrev_b32_e32 v11, 2, v8
	v_cvt_f64_f32_e32 v[8:9], v1
	s_or_b64 vcc, s[0:1], vcc
	v_addc_co_u32_e32 v1, vcc, 0, v11, vcc
	v_mul_f64 v[8:9], v[8:9], s[2:3]
	v_cmp_gt_i32_e32 vcc, 31, v10
	v_cndmask_b32_e32 v1, v0, v1, vcc
	v_cmp_ne_u32_e32 vcc, 0, v6
	v_cndmask_b32_e64 v6, 0, 1, vcc
	v_lshl_or_b32 v6, v6, 9, v0
	v_cmp_eq_u32_e32 vcc, s10, v10
	v_cndmask_b32_e32 v1, v1, v6, vcc
	v_lshrrev_b32_e32 v6, 16, v7
	v_and_or_b32 v1, v6, s11, v1
	v_and_or_b32 v6, v9, s6, v8
	v_cmp_ne_u32_e32 vcc, 0, v6
	v_cndmask_b32_e64 v6, 0, 1, vcc
	v_lshrrev_b32_e32 v7, 8, v9
	v_bfe_u32 v8, v9, 20, 11
	v_and_or_b32 v6, v7, s7, v6
	v_sub_u32_e32 v10, 0x3f1, v8
	v_or_b32_e32 v7, 0x1000, v6
	v_med3_i32 v10, v10, 0, 13
	v_lshrrev_b32_e32 v11, v10, v7
	v_lshlrev_b32_e32 v10, v10, v11
	v_cmp_ne_u32_e32 vcc, v10, v7
	v_cndmask_b32_e64 v7, 0, 1, vcc
	v_add_u32_e32 v8, 0xfffffc10, v8
	v_or_b32_e32 v7, v11, v7
	v_lshl_or_b32 v10, v8, 12, v6
	v_cmp_gt_i32_e32 vcc, 1, v8
	v_cndmask_b32_e32 v7, v10, v7, vcc
	v_and_b32_e32 v10, 7, v7
	v_cmp_lt_i32_e32 vcc, 5, v10
	v_cmp_eq_u32_e64 s[0:1], 3, v10
	v_lshrrev_b32_e32 v10, 16, v3
	v_lshrrev_b32_e32 v7, 2, v7
	s_or_b64 vcc, s[0:1], vcc
	v_mul_f16_sdwa v11, v22, v10 dst_sel:DWORD dst_unused:UNUSED_PAD src0_sel:WORD_1 src1_sel:DWORD
	v_addc_co_u32_e32 v7, vcc, 0, v7, vcc
	v_fma_f16 v11, v22, v3, v11
	v_cmp_gt_i32_e32 vcc, 31, v8
	v_cvt_f32_f16_e32 v11, v11
	v_cndmask_b32_e32 v7, v0, v7, vcc
	v_cmp_ne_u32_e32 vcc, 0, v6
	v_cndmask_b32_e64 v6, 0, 1, vcc
	v_lshl_or_b32 v6, v6, 9, v0
	v_cmp_eq_u32_e32 vcc, s10, v8
	v_cndmask_b32_e32 v8, v7, v6, vcc
	v_cvt_f64_f32_e32 v[6:7], v11
	v_lshrrev_b32_e32 v9, 16, v9
	v_and_or_b32 v8, v9, s11, v8
	v_and_b32_e32 v1, 0xffff, v1
	v_mul_f64 v[6:7], v[6:7], s[2:3]
	v_lshl_or_b32 v1, v8, 16, v1
	v_mov_b32_e32 v8, s4
	v_add_co_u32_e32 v4, vcc, s5, v4
	v_addc_co_u32_e32 v5, vcc, v5, v8, vcc
	global_store_dword v[4:5], v1, off
	v_and_or_b32 v1, v7, s6, v6
	v_cmp_ne_u32_e32 vcc, 0, v1
	v_cndmask_b32_e64 v1, 0, 1, vcc
	v_lshrrev_b32_e32 v6, 8, v7
	v_bfe_u32 v8, v7, 20, 11
	v_and_or_b32 v1, v6, s7, v1
	v_sub_u32_e32 v9, 0x3f1, v8
	v_or_b32_e32 v6, 0x1000, v1
	v_med3_i32 v9, v9, 0, 13
	v_lshrrev_b32_e32 v11, v9, v6
	v_lshlrev_b32_e32 v9, v9, v11
	v_cmp_ne_u32_e32 vcc, v9, v6
	v_mul_f16_sdwa v3, v22, v3 dst_sel:DWORD dst_unused:UNUSED_PAD src0_sel:WORD_1 src1_sel:DWORD
	v_cndmask_b32_e64 v6, 0, 1, vcc
	v_fma_f16 v3, v22, v10, -v3
	v_or_b32_e32 v6, v11, v6
	v_add_u32_e32 v11, 0xfffffc10, v8
	v_cvt_f32_f16_e32 v3, v3
	v_lshl_or_b32 v8, v11, 12, v1
	v_cmp_gt_i32_e32 vcc, 1, v11
	v_cndmask_b32_e32 v6, v8, v6, vcc
	v_and_b32_e32 v8, 7, v6
	v_cmp_lt_i32_e32 vcc, 5, v8
	v_cmp_eq_u32_e64 s[0:1], 3, v8
	v_cvt_f64_f32_e32 v[8:9], v3
	v_lshrrev_b32_e32 v6, 2, v6
	s_or_b64 vcc, s[0:1], vcc
	v_addc_co_u32_e32 v3, vcc, 0, v6, vcc
	v_mul_f64 v[8:9], v[8:9], s[2:3]
	v_cmp_gt_i32_e32 vcc, 31, v11
	v_cndmask_b32_e32 v3, v0, v3, vcc
	v_cmp_ne_u32_e32 vcc, 0, v1
	v_cndmask_b32_e64 v1, 0, 1, vcc
	v_lshl_or_b32 v1, v1, 9, v0
	v_cmp_eq_u32_e32 vcc, s10, v11
	v_cndmask_b32_e32 v1, v3, v1, vcc
	v_lshrrev_b32_e32 v3, 16, v7
	v_and_or_b32 v1, v3, s11, v1
	v_and_or_b32 v3, v9, s6, v8
	v_cmp_ne_u32_e32 vcc, 0, v3
	v_cndmask_b32_e64 v3, 0, 1, vcc
	v_lshrrev_b32_e32 v6, 8, v9
	v_bfe_u32 v7, v9, 20, 11
	v_and_or_b32 v3, v6, s7, v3
	v_sub_u32_e32 v8, 0x3f1, v7
	v_or_b32_e32 v6, 0x1000, v3
	v_med3_i32 v8, v8, 0, 13
	v_lshrrev_b32_e32 v10, v8, v6
	v_lshlrev_b32_e32 v8, v8, v10
	v_cmp_ne_u32_e32 vcc, v8, v6
	v_cndmask_b32_e64 v6, 0, 1, vcc
	v_add_u32_e32 v7, 0xfffffc10, v7
	v_or_b32_e32 v6, v10, v6
	v_lshl_or_b32 v8, v7, 12, v3
	v_cmp_gt_i32_e32 vcc, 1, v7
	v_cndmask_b32_e32 v6, v8, v6, vcc
	v_and_b32_e32 v8, 7, v6
	v_cmp_lt_i32_e32 vcc, 5, v8
	v_cmp_eq_u32_e64 s[0:1], 3, v8
	v_lshrrev_b32_e32 v8, 16, v2
	v_lshrrev_b32_e32 v6, 2, v6
	s_or_b64 vcc, s[0:1], vcc
	v_mul_f16_sdwa v10, v21, v8 dst_sel:DWORD dst_unused:UNUSED_PAD src0_sel:WORD_1 src1_sel:DWORD
	v_addc_co_u32_e32 v6, vcc, 0, v6, vcc
	v_fma_f16 v10, v21, v2, v10
	v_cmp_gt_i32_e32 vcc, 31, v7
	v_cvt_f32_f16_e32 v10, v10
	v_cndmask_b32_e32 v6, v0, v6, vcc
	v_cmp_ne_u32_e32 vcc, 0, v3
	v_cndmask_b32_e64 v3, 0, 1, vcc
	v_lshl_or_b32 v3, v3, 9, v0
	v_cmp_eq_u32_e32 vcc, s10, v7
	v_cndmask_b32_e32 v3, v6, v3, vcc
	v_cvt_f64_f32_e32 v[6:7], v10
	v_lshrrev_b32_e32 v9, 16, v9
	v_and_or_b32 v3, v9, s11, v3
	v_and_b32_e32 v1, 0xffff, v1
	v_mul_f64 v[6:7], v[6:7], s[2:3]
	v_lshl_or_b32 v1, v3, 16, v1
	v_mov_b32_e32 v9, s9
	v_add_co_u32_e32 v3, vcc, s8, v4
	v_addc_co_u32_e32 v4, vcc, v5, v9, vcc
	global_store_dword v[3:4], v1, off
	v_and_or_b32 v1, v7, s6, v6
	v_cmp_ne_u32_e32 vcc, 0, v1
	v_cndmask_b32_e64 v1, 0, 1, vcc
	v_lshrrev_b32_e32 v5, 8, v7
	v_bfe_u32 v6, v7, 20, 11
	v_and_or_b32 v5, v5, s7, v1
	v_sub_u32_e32 v9, 0x3f1, v6
	v_or_b32_e32 v1, 0x1000, v5
	v_med3_i32 v9, v9, 0, 13
	v_lshrrev_b32_e32 v10, v9, v1
	v_mul_f16_sdwa v2, v21, v2 dst_sel:DWORD dst_unused:UNUSED_PAD src0_sel:WORD_1 src1_sel:DWORD
	v_lshlrev_b32_e32 v9, v9, v10
	v_fma_f16 v2, v21, v8, -v2
	v_cmp_ne_u32_e32 vcc, v9, v1
	v_cvt_f32_f16_e32 v2, v2
	v_cndmask_b32_e64 v1, 0, 1, vcc
	v_add_u32_e32 v6, 0xfffffc10, v6
	v_or_b32_e32 v1, v10, v1
	v_lshl_or_b32 v9, v6, 12, v5
	v_cmp_gt_i32_e32 vcc, 1, v6
	v_cndmask_b32_e32 v1, v9, v1, vcc
	v_and_b32_e32 v9, 7, v1
	v_lshrrev_b32_e32 v8, 2, v1
	v_cvt_f64_f32_e32 v[1:2], v2
	v_cmp_lt_i32_e32 vcc, 5, v9
	v_cmp_eq_u32_e64 s[0:1], 3, v9
	s_or_b64 vcc, s[0:1], vcc
	v_mul_f64 v[1:2], v[1:2], s[2:3]
	v_addc_co_u32_e32 v8, vcc, 0, v8, vcc
	v_cmp_gt_i32_e32 vcc, 31, v6
	v_cndmask_b32_e32 v8, v0, v8, vcc
	v_cmp_ne_u32_e32 vcc, 0, v5
	v_cndmask_b32_e64 v5, 0, 1, vcc
	v_lshl_or_b32 v5, v5, 9, v0
	v_cmp_eq_u32_e32 vcc, s10, v6
	v_and_or_b32 v1, v2, s6, v1
	v_cndmask_b32_e32 v5, v8, v5, vcc
	v_lshrrev_b32_e32 v6, 16, v7
	v_cmp_ne_u32_e32 vcc, 0, v1
	v_and_or_b32 v5, v6, s11, v5
	v_cndmask_b32_e64 v1, 0, 1, vcc
	v_lshrrev_b32_e32 v6, 8, v2
	v_bfe_u32 v7, v2, 20, 11
	v_and_or_b32 v1, v6, s7, v1
	v_sub_u32_e32 v8, 0x3f1, v7
	v_or_b32_e32 v6, 0x1000, v1
	v_med3_i32 v8, v8, 0, 13
	v_lshrrev_b32_e32 v9, v8, v6
	v_lshlrev_b32_e32 v8, v8, v9
	v_cmp_ne_u32_e32 vcc, v8, v6
	v_cndmask_b32_e64 v6, 0, 1, vcc
	v_add_u32_e32 v7, 0xfffffc10, v7
	v_or_b32_e32 v6, v9, v6
	v_lshl_or_b32 v8, v7, 12, v1
	v_cmp_gt_i32_e32 vcc, 1, v7
	v_cndmask_b32_e32 v6, v8, v6, vcc
	v_and_b32_e32 v8, 7, v6
	v_cmp_lt_i32_e32 vcc, 5, v8
	v_cmp_eq_u32_e64 s[0:1], 3, v8
	v_lshrrev_b32_e32 v6, 2, v6
	s_or_b64 vcc, s[0:1], vcc
	v_addc_co_u32_e32 v6, vcc, 0, v6, vcc
	v_cmp_gt_i32_e32 vcc, 31, v7
	v_cndmask_b32_e32 v6, v0, v6, vcc
	v_cmp_ne_u32_e32 vcc, 0, v1
	v_cndmask_b32_e64 v1, 0, 1, vcc
	v_lshl_or_b32 v0, v1, 9, v0
	v_cmp_eq_u32_e32 vcc, s10, v7
	v_cndmask_b32_e32 v0, v6, v0, vcc
	v_lshrrev_b32_e32 v1, 16, v2
	v_and_or_b32 v0, v1, s11, v0
	v_and_b32_e32 v1, 0xffff, v5
	v_lshl_or_b32 v2, v0, 16, v1
	v_mov_b32_e32 v1, s4
	v_add_co_u32_e32 v0, vcc, s5, v3
	v_addc_co_u32_e32 v1, vcc, v4, v1, vcc
	global_store_dword v[0:1], v2, off
.LBB0_10:
	s_endpgm
	.section	.rodata,"a",@progbits
	.p2align	6, 0x0
	.amdhsa_kernel bluestein_single_back_len1408_dim1_half_op_CI_CI
		.amdhsa_group_segment_fixed_size 5632
		.amdhsa_private_segment_fixed_size 0
		.amdhsa_kernarg_size 104
		.amdhsa_user_sgpr_count 6
		.amdhsa_user_sgpr_private_segment_buffer 1
		.amdhsa_user_sgpr_dispatch_ptr 0
		.amdhsa_user_sgpr_queue_ptr 0
		.amdhsa_user_sgpr_kernarg_segment_ptr 1
		.amdhsa_user_sgpr_dispatch_id 0
		.amdhsa_user_sgpr_flat_scratch_init 0
		.amdhsa_user_sgpr_private_segment_size 0
		.amdhsa_uses_dynamic_stack 0
		.amdhsa_system_sgpr_private_segment_wavefront_offset 0
		.amdhsa_system_sgpr_workgroup_id_x 1
		.amdhsa_system_sgpr_workgroup_id_y 0
		.amdhsa_system_sgpr_workgroup_id_z 0
		.amdhsa_system_sgpr_workgroup_info 0
		.amdhsa_system_vgpr_workitem_id 0
		.amdhsa_next_free_vgpr 179
		.amdhsa_next_free_sgpr 28
		.amdhsa_reserve_vcc 1
		.amdhsa_reserve_flat_scratch 0
		.amdhsa_float_round_mode_32 0
		.amdhsa_float_round_mode_16_64 0
		.amdhsa_float_denorm_mode_32 3
		.amdhsa_float_denorm_mode_16_64 3
		.amdhsa_dx10_clamp 1
		.amdhsa_ieee_mode 1
		.amdhsa_fp16_overflow 0
		.amdhsa_exception_fp_ieee_invalid_op 0
		.amdhsa_exception_fp_denorm_src 0
		.amdhsa_exception_fp_ieee_div_zero 0
		.amdhsa_exception_fp_ieee_overflow 0
		.amdhsa_exception_fp_ieee_underflow 0
		.amdhsa_exception_fp_ieee_inexact 0
		.amdhsa_exception_int_div_zero 0
	.end_amdhsa_kernel
	.text
.Lfunc_end0:
	.size	bluestein_single_back_len1408_dim1_half_op_CI_CI, .Lfunc_end0-bluestein_single_back_len1408_dim1_half_op_CI_CI
                                        ; -- End function
	.section	.AMDGPU.csdata,"",@progbits
; Kernel info:
; codeLenInByte = 16576
; NumSgprs: 32
; NumVgprs: 179
; ScratchSize: 0
; MemoryBound: 0
; FloatMode: 240
; IeeeMode: 1
; LDSByteSize: 5632 bytes/workgroup (compile time only)
; SGPRBlocks: 3
; VGPRBlocks: 44
; NumSGPRsForWavesPerEU: 32
; NumVGPRsForWavesPerEU: 179
; Occupancy: 1
; WaveLimiterHint : 1
; COMPUTE_PGM_RSRC2:SCRATCH_EN: 0
; COMPUTE_PGM_RSRC2:USER_SGPR: 6
; COMPUTE_PGM_RSRC2:TRAP_HANDLER: 0
; COMPUTE_PGM_RSRC2:TGID_X_EN: 1
; COMPUTE_PGM_RSRC2:TGID_Y_EN: 0
; COMPUTE_PGM_RSRC2:TGID_Z_EN: 0
; COMPUTE_PGM_RSRC2:TIDIG_COMP_CNT: 0
	.type	__hip_cuid_d4093eacc47773c2,@object ; @__hip_cuid_d4093eacc47773c2
	.section	.bss,"aw",@nobits
	.globl	__hip_cuid_d4093eacc47773c2
__hip_cuid_d4093eacc47773c2:
	.byte	0                               ; 0x0
	.size	__hip_cuid_d4093eacc47773c2, 1

	.ident	"AMD clang version 19.0.0git (https://github.com/RadeonOpenCompute/llvm-project roc-6.4.0 25133 c7fe45cf4b819c5991fe208aaa96edf142730f1d)"
	.section	".note.GNU-stack","",@progbits
	.addrsig
	.addrsig_sym __hip_cuid_d4093eacc47773c2
	.amdgpu_metadata
---
amdhsa.kernels:
  - .args:
      - .actual_access:  read_only
        .address_space:  global
        .offset:         0
        .size:           8
        .value_kind:     global_buffer
      - .actual_access:  read_only
        .address_space:  global
        .offset:         8
        .size:           8
        .value_kind:     global_buffer
      - .actual_access:  read_only
        .address_space:  global
        .offset:         16
        .size:           8
        .value_kind:     global_buffer
      - .actual_access:  read_only
        .address_space:  global
        .offset:         24
        .size:           8
        .value_kind:     global_buffer
      - .actual_access:  read_only
        .address_space:  global
        .offset:         32
        .size:           8
        .value_kind:     global_buffer
      - .offset:         40
        .size:           8
        .value_kind:     by_value
      - .address_space:  global
        .offset:         48
        .size:           8
        .value_kind:     global_buffer
      - .address_space:  global
        .offset:         56
        .size:           8
        .value_kind:     global_buffer
      - .address_space:  global
        .offset:         64
        .size:           8
        .value_kind:     global_buffer
      - .address_space:  global
        .offset:         72
        .size:           8
        .value_kind:     global_buffer
      - .offset:         80
        .size:           4
        .value_kind:     by_value
      - .address_space:  global
        .offset:         88
        .size:           8
        .value_kind:     global_buffer
      - .address_space:  global
        .offset:         96
        .size:           8
        .value_kind:     global_buffer
    .group_segment_fixed_size: 5632
    .kernarg_segment_align: 8
    .kernarg_segment_size: 104
    .language:       OpenCL C
    .language_version:
      - 2
      - 0
    .max_flat_workgroup_size: 176
    .name:           bluestein_single_back_len1408_dim1_half_op_CI_CI
    .private_segment_fixed_size: 0
    .sgpr_count:     32
    .sgpr_spill_count: 0
    .symbol:         bluestein_single_back_len1408_dim1_half_op_CI_CI.kd
    .uniform_work_group_size: 1
    .uses_dynamic_stack: false
    .vgpr_count:     179
    .vgpr_spill_count: 0
    .wavefront_size: 64
amdhsa.target:   amdgcn-amd-amdhsa--gfx906
amdhsa.version:
  - 1
  - 2
...

	.end_amdgpu_metadata
